;; amdgpu-corpus repo=ROCm/rocFFT kind=compiled arch=gfx906 opt=O3
	.text
	.amdgcn_target "amdgcn-amd-amdhsa--gfx906"
	.amdhsa_code_object_version 6
	.protected	fft_rtc_back_len1248_factors_2_2_13_2_3_2_2_wgs_52_tpt_52_halfLds_sp_op_CI_CI_sbrr_dirReg ; -- Begin function fft_rtc_back_len1248_factors_2_2_13_2_3_2_2_wgs_52_tpt_52_halfLds_sp_op_CI_CI_sbrr_dirReg
	.globl	fft_rtc_back_len1248_factors_2_2_13_2_3_2_2_wgs_52_tpt_52_halfLds_sp_op_CI_CI_sbrr_dirReg
	.p2align	8
	.type	fft_rtc_back_len1248_factors_2_2_13_2_3_2_2_wgs_52_tpt_52_halfLds_sp_op_CI_CI_sbrr_dirReg,@function
fft_rtc_back_len1248_factors_2_2_13_2_3_2_2_wgs_52_tpt_52_halfLds_sp_op_CI_CI_sbrr_dirReg: ; @fft_rtc_back_len1248_factors_2_2_13_2_3_2_2_wgs_52_tpt_52_halfLds_sp_op_CI_CI_sbrr_dirReg
; %bb.0:
	s_load_dwordx4 s[16:19], s[4:5], 0x18
	s_load_dwordx4 s[12:15], s[4:5], 0x0
	;; [unrolled: 1-line block ×3, first 2 shown]
	v_mul_u32_u24_e32 v1, 0x4ed, v0
	v_add_u32_sdwa v7, s6, v1 dst_sel:DWORD dst_unused:UNUSED_PAD src0_sel:DWORD src1_sel:WORD_1
	s_waitcnt lgkmcnt(0)
	s_load_dwordx2 s[20:21], s[16:17], 0x0
	s_load_dwordx2 s[2:3], s[18:19], 0x0
	v_cmp_lt_u64_e64 s[0:1], s[14:15], 2
	v_mov_b32_e32 v1, 0
	v_mov_b32_e32 v24, 0
	;; [unrolled: 1-line block ×3, first 2 shown]
	s_and_b64 vcc, exec, s[0:1]
	v_mov_b32_e32 v25, 0
	s_cbranch_vccnz .LBB0_8
; %bb.1:
	s_load_dwordx2 s[0:1], s[4:5], 0x10
	s_add_u32 s6, s18, 8
	s_addc_u32 s7, s19, 0
	s_add_u32 s22, s16, 8
	s_addc_u32 s23, s17, 0
	v_mov_b32_e32 v24, 0
	s_waitcnt lgkmcnt(0)
	s_add_u32 s24, s0, 8
	v_mov_b32_e32 v25, 0
	v_mov_b32_e32 v3, v24
	s_addc_u32 s25, s1, 0
	s_mov_b64 s[26:27], 1
	v_mov_b32_e32 v4, v25
.LBB0_2:                                ; =>This Inner Loop Header: Depth=1
	s_load_dwordx2 s[28:29], s[24:25], 0x0
                                        ; implicit-def: $vgpr5_vgpr6
	s_waitcnt lgkmcnt(0)
	v_or_b32_e32 v2, s29, v8
	v_cmp_ne_u64_e32 vcc, 0, v[1:2]
	s_and_saveexec_b64 s[0:1], vcc
	s_xor_b64 s[30:31], exec, s[0:1]
	s_cbranch_execz .LBB0_4
; %bb.3:                                ;   in Loop: Header=BB0_2 Depth=1
	v_cvt_f32_u32_e32 v2, s28
	v_cvt_f32_u32_e32 v5, s29
	s_sub_u32 s0, 0, s28
	s_subb_u32 s1, 0, s29
	v_mac_f32_e32 v2, 0x4f800000, v5
	v_rcp_f32_e32 v2, v2
	v_mul_f32_e32 v2, 0x5f7ffffc, v2
	v_mul_f32_e32 v5, 0x2f800000, v2
	v_trunc_f32_e32 v5, v5
	v_mac_f32_e32 v2, 0xcf800000, v5
	v_cvt_u32_f32_e32 v5, v5
	v_cvt_u32_f32_e32 v2, v2
	v_mul_lo_u32 v6, s0, v5
	v_mul_hi_u32 v9, s0, v2
	v_mul_lo_u32 v11, s1, v2
	v_mul_lo_u32 v10, s0, v2
	v_add_u32_e32 v6, v9, v6
	v_add_u32_e32 v6, v6, v11
	v_mul_hi_u32 v9, v2, v10
	v_mul_lo_u32 v11, v2, v6
	v_mul_hi_u32 v13, v2, v6
	v_mul_hi_u32 v12, v5, v10
	v_mul_lo_u32 v10, v5, v10
	v_mul_hi_u32 v14, v5, v6
	v_add_co_u32_e32 v9, vcc, v9, v11
	v_addc_co_u32_e32 v11, vcc, 0, v13, vcc
	v_mul_lo_u32 v6, v5, v6
	v_add_co_u32_e32 v9, vcc, v9, v10
	v_addc_co_u32_e32 v9, vcc, v11, v12, vcc
	v_addc_co_u32_e32 v10, vcc, 0, v14, vcc
	v_add_co_u32_e32 v6, vcc, v9, v6
	v_addc_co_u32_e32 v9, vcc, 0, v10, vcc
	v_add_co_u32_e32 v2, vcc, v2, v6
	v_addc_co_u32_e32 v5, vcc, v5, v9, vcc
	v_mul_lo_u32 v6, s0, v5
	v_mul_hi_u32 v9, s0, v2
	v_mul_lo_u32 v10, s1, v2
	v_mul_lo_u32 v11, s0, v2
	v_add_u32_e32 v6, v9, v6
	v_add_u32_e32 v6, v6, v10
	v_mul_lo_u32 v12, v2, v6
	v_mul_hi_u32 v13, v2, v11
	v_mul_hi_u32 v14, v2, v6
	;; [unrolled: 1-line block ×3, first 2 shown]
	v_mul_lo_u32 v11, v5, v11
	v_mul_hi_u32 v9, v5, v6
	v_add_co_u32_e32 v12, vcc, v13, v12
	v_addc_co_u32_e32 v13, vcc, 0, v14, vcc
	v_mul_lo_u32 v6, v5, v6
	v_add_co_u32_e32 v11, vcc, v12, v11
	v_addc_co_u32_e32 v10, vcc, v13, v10, vcc
	v_addc_co_u32_e32 v9, vcc, 0, v9, vcc
	v_add_co_u32_e32 v6, vcc, v10, v6
	v_addc_co_u32_e32 v9, vcc, 0, v9, vcc
	v_add_co_u32_e32 v2, vcc, v2, v6
	v_addc_co_u32_e32 v9, vcc, v5, v9, vcc
	v_mad_u64_u32 v[5:6], s[0:1], v7, v9, 0
	v_mul_hi_u32 v10, v7, v2
	v_add_co_u32_e32 v11, vcc, v10, v5
	v_addc_co_u32_e32 v12, vcc, 0, v6, vcc
	v_mad_u64_u32 v[5:6], s[0:1], v8, v2, 0
	v_mad_u64_u32 v[9:10], s[0:1], v8, v9, 0
	v_add_co_u32_e32 v2, vcc, v11, v5
	v_addc_co_u32_e32 v2, vcc, v12, v6, vcc
	v_addc_co_u32_e32 v5, vcc, 0, v10, vcc
	v_add_co_u32_e32 v2, vcc, v2, v9
	v_addc_co_u32_e32 v9, vcc, 0, v5, vcc
	v_mul_lo_u32 v10, s29, v2
	v_mul_lo_u32 v11, s28, v9
	v_mad_u64_u32 v[5:6], s[0:1], s28, v2, 0
	v_add3_u32 v6, v6, v11, v10
	v_sub_u32_e32 v10, v8, v6
	v_mov_b32_e32 v11, s29
	v_sub_co_u32_e32 v5, vcc, v7, v5
	v_subb_co_u32_e64 v10, s[0:1], v10, v11, vcc
	v_subrev_co_u32_e64 v11, s[0:1], s28, v5
	v_subbrev_co_u32_e64 v10, s[0:1], 0, v10, s[0:1]
	v_cmp_le_u32_e64 s[0:1], s29, v10
	v_cndmask_b32_e64 v12, 0, -1, s[0:1]
	v_cmp_le_u32_e64 s[0:1], s28, v11
	v_cndmask_b32_e64 v11, 0, -1, s[0:1]
	v_cmp_eq_u32_e64 s[0:1], s29, v10
	v_cndmask_b32_e64 v10, v12, v11, s[0:1]
	v_add_co_u32_e64 v11, s[0:1], 2, v2
	v_addc_co_u32_e64 v12, s[0:1], 0, v9, s[0:1]
	v_add_co_u32_e64 v13, s[0:1], 1, v2
	v_addc_co_u32_e64 v14, s[0:1], 0, v9, s[0:1]
	v_subb_co_u32_e32 v6, vcc, v8, v6, vcc
	v_cmp_ne_u32_e64 s[0:1], 0, v10
	v_cmp_le_u32_e32 vcc, s29, v6
	v_cndmask_b32_e64 v10, v14, v12, s[0:1]
	v_cndmask_b32_e64 v12, 0, -1, vcc
	v_cmp_le_u32_e32 vcc, s28, v5
	v_cndmask_b32_e64 v5, 0, -1, vcc
	v_cmp_eq_u32_e32 vcc, s29, v6
	v_cndmask_b32_e32 v5, v12, v5, vcc
	v_cmp_ne_u32_e32 vcc, 0, v5
	v_cndmask_b32_e64 v5, v13, v11, s[0:1]
	v_cndmask_b32_e32 v6, v9, v10, vcc
	v_cndmask_b32_e32 v5, v2, v5, vcc
.LBB0_4:                                ;   in Loop: Header=BB0_2 Depth=1
	s_andn2_saveexec_b64 s[0:1], s[30:31]
	s_cbranch_execz .LBB0_6
; %bb.5:                                ;   in Loop: Header=BB0_2 Depth=1
	v_cvt_f32_u32_e32 v2, s28
	s_sub_i32 s30, 0, s28
	v_rcp_iflag_f32_e32 v2, v2
	v_mul_f32_e32 v2, 0x4f7ffffe, v2
	v_cvt_u32_f32_e32 v2, v2
	v_mul_lo_u32 v5, s30, v2
	v_mul_hi_u32 v5, v2, v5
	v_add_u32_e32 v2, v2, v5
	v_mul_hi_u32 v2, v7, v2
	v_mul_lo_u32 v5, v2, s28
	v_add_u32_e32 v6, 1, v2
	v_sub_u32_e32 v5, v7, v5
	v_subrev_u32_e32 v9, s28, v5
	v_cmp_le_u32_e32 vcc, s28, v5
	v_cndmask_b32_e32 v5, v5, v9, vcc
	v_cndmask_b32_e32 v2, v2, v6, vcc
	v_add_u32_e32 v6, 1, v2
	v_cmp_le_u32_e32 vcc, s28, v5
	v_cndmask_b32_e32 v5, v2, v6, vcc
	v_mov_b32_e32 v6, v1
.LBB0_6:                                ;   in Loop: Header=BB0_2 Depth=1
	s_or_b64 exec, exec, s[0:1]
	v_mul_lo_u32 v2, v6, s28
	v_mul_lo_u32 v11, v5, s29
	v_mad_u64_u32 v[9:10], s[0:1], v5, s28, 0
	s_load_dwordx2 s[0:1], s[22:23], 0x0
	s_load_dwordx2 s[28:29], s[6:7], 0x0
	v_add3_u32 v2, v10, v11, v2
	v_sub_co_u32_e32 v7, vcc, v7, v9
	v_subb_co_u32_e32 v2, vcc, v8, v2, vcc
	s_waitcnt lgkmcnt(0)
	v_mul_lo_u32 v8, s0, v2
	v_mul_lo_u32 v9, s1, v7
	v_mad_u64_u32 v[24:25], s[0:1], s0, v7, v[24:25]
	s_add_u32 s26, s26, 1
	s_addc_u32 s27, s27, 0
	s_add_u32 s6, s6, 8
	v_mul_lo_u32 v2, s28, v2
	v_mul_lo_u32 v10, s29, v7
	v_mad_u64_u32 v[3:4], s[0:1], s28, v7, v[3:4]
	v_add3_u32 v25, v9, v25, v8
	s_addc_u32 s7, s7, 0
	v_mov_b32_e32 v7, s14
	s_add_u32 s22, s22, 8
	v_mov_b32_e32 v8, s15
	s_addc_u32 s23, s23, 0
	v_cmp_ge_u64_e32 vcc, s[26:27], v[7:8]
	s_add_u32 s24, s24, 8
	v_add3_u32 v4, v10, v4, v2
	s_addc_u32 s25, s25, 0
	s_cbranch_vccnz .LBB0_9
; %bb.7:                                ;   in Loop: Header=BB0_2 Depth=1
	v_mov_b32_e32 v8, v6
	v_mov_b32_e32 v7, v5
	s_branch .LBB0_2
.LBB0_8:
	v_mov_b32_e32 v3, v24
	v_mov_b32_e32 v5, v7
	;; [unrolled: 1-line block ×4, first 2 shown]
.LBB0_9:
	s_load_dwordx2 s[0:1], s[4:5], 0x28
	s_lshl_b64 s[14:15], s[14:15], 3
	s_add_u32 s4, s18, s14
	s_addc_u32 s5, s19, s15
                                        ; implicit-def: $sgpr18_sgpr19
                                        ; implicit-def: $vgpr1
                                        ; implicit-def: $vgpr12
                                        ; implicit-def: $vgpr14
                                        ; implicit-def: $vgpr17
                                        ; implicit-def: $vgpr19
                                        ; implicit-def: $vgpr21
                                        ; implicit-def: $vgpr7
                                        ; implicit-def: $vgpr9
                                        ; implicit-def: $vgpr10
                                        ; implicit-def: $vgpr11
                                        ; implicit-def: $vgpr16
                                        ; implicit-def: $vgpr23
	s_waitcnt lgkmcnt(0)
	v_cmp_gt_u64_e32 vcc, s[0:1], v[5:6]
	v_cmp_le_u64_e64 s[0:1], s[0:1], v[5:6]
	s_and_saveexec_b64 s[6:7], s[0:1]
	s_xor_b64 s[0:1], exec, s[6:7]
	s_cbranch_execz .LBB0_11
; %bb.10:
	s_mov_b32 s6, 0x4ec4ec5
	v_mul_hi_u32 v1, v0, s6
	s_mov_b64 s[18:19], 0
                                        ; implicit-def: $vgpr24_vgpr25
	v_mul_u32_u24_e32 v1, 52, v1
	v_sub_u32_e32 v1, v0, v1
	v_add_u32_e32 v12, 52, v1
	v_add_u32_e32 v14, 0x68, v1
	;; [unrolled: 1-line block ×11, first 2 shown]
                                        ; implicit-def: $vgpr0
.LBB0_11:
	s_or_saveexec_b64 s[6:7], s[0:1]
	v_mov_b32_e32 v42, s19
	v_mov_b32_e32 v67, s19
	;; [unrolled: 1-line block ×24, first 2 shown]
                                        ; implicit-def: $vgpr44
                                        ; implicit-def: $vgpr30
                                        ; implicit-def: $vgpr28
                                        ; implicit-def: $vgpr26
                                        ; implicit-def: $vgpr32
                                        ; implicit-def: $vgpr34
                                        ; implicit-def: $vgpr36
                                        ; implicit-def: $vgpr40
                                        ; implicit-def: $vgpr38
                                        ; implicit-def: $vgpr48
                                        ; implicit-def: $vgpr51
                                        ; implicit-def: $vgpr53
	s_xor_b64 exec, exec, s[6:7]
	s_cbranch_execz .LBB0_13
; %bb.12:
	s_add_u32 s0, s16, s14
	s_mov_b32 s14, 0x4ec4ec5
	v_mul_hi_u32 v1, v0, s14
	s_addc_u32 s1, s17, s15
	s_load_dwordx2 s[0:1], s[0:1], 0x0
	v_mul_u32_u24_e32 v1, 52, v1
	v_sub_u32_e32 v1, v0, v1
	v_mad_u64_u32 v[7:8], s[14:15], s20, v1, 0
	s_waitcnt lgkmcnt(0)
	v_mul_lo_u32 v2, s1, v5
	v_mul_lo_u32 v13, s0, v6
	v_mad_u64_u32 v[9:10], s[0:1], s0, v5, 0
	v_mov_b32_e32 v0, v8
	v_mad_u64_u32 v[11:12], s[0:1], s21, v1, v[0:1]
	v_add3_u32 v10, v10, v13, v2
	v_lshlrev_b64 v[9:10], 3, v[9:10]
	v_mov_b32_e32 v8, v11
	v_mov_b32_e32 v0, s9
	v_add_co_u32_e64 v2, s[0:1], s8, v9
	v_add_u32_e32 v11, 0x270, v1
	v_addc_co_u32_e64 v0, s[0:1], v0, v10, s[0:1]
	v_mad_u64_u32 v[13:14], s[0:1], s20, v11, 0
	v_lshlrev_b64 v[9:10], 3, v[24:25]
	v_add_u32_e32 v12, 52, v1
	v_add_co_u32_e64 v2, s[0:1], v2, v9
	v_addc_co_u32_e64 v41, s[0:1], v0, v10, s[0:1]
	v_mov_b32_e32 v0, v14
	v_mad_u64_u32 v[9:10], s[0:1], s21, v11, v[0:1]
	v_mad_u64_u32 v[10:11], s[0:1], s20, v12, 0
	v_lshlrev_b64 v[7:8], 3, v[7:8]
	v_mov_b32_e32 v14, v9
	v_add_co_u32_e64 v31, s[0:1], v2, v7
	v_mov_b32_e32 v0, v11
	v_add_u32_e32 v9, 0x2a4, v1
	v_addc_co_u32_e64 v32, s[0:1], v41, v8, s[0:1]
	v_lshlrev_b64 v[7:8], 3, v[13:14]
	v_mad_u64_u32 v[13:14], s[0:1], s21, v12, v[0:1]
	v_mad_u64_u32 v[15:16], s[0:1], s20, v9, 0
	v_add_co_u32_e64 v33, s[0:1], v2, v7
	v_mov_b32_e32 v11, v13
	v_mov_b32_e32 v0, v16
	v_addc_co_u32_e64 v34, s[0:1], v41, v8, s[0:1]
	v_lshlrev_b64 v[7:8], 3, v[10:11]
	v_mad_u64_u32 v[9:10], s[0:1], s21, v9, v[0:1]
	v_add_u32_e32 v14, 0x68, v1
	v_mad_u64_u32 v[10:11], s[0:1], s20, v14, 0
	v_add_co_u32_e64 v35, s[0:1], v2, v7
	v_mov_b32_e32 v16, v9
	v_mov_b32_e32 v0, v11
	v_add_u32_e32 v9, 0x2d8, v1
	v_addc_co_u32_e64 v36, s[0:1], v41, v8, s[0:1]
	v_lshlrev_b64 v[7:8], 3, v[15:16]
	v_mad_u64_u32 v[15:16], s[0:1], s21, v14, v[0:1]
	v_mad_u64_u32 v[18:19], s[0:1], s20, v9, 0
	v_add_co_u32_e64 v37, s[0:1], v2, v7
	v_mov_b32_e32 v11, v15
	v_mov_b32_e32 v0, v19
	v_addc_co_u32_e64 v38, s[0:1], v41, v8, s[0:1]
	v_lshlrev_b64 v[7:8], 3, v[10:11]
	v_mad_u64_u32 v[9:10], s[0:1], s21, v9, v[0:1]
	v_add_u32_e32 v17, 0x9c, v1
	v_mad_u64_u32 v[10:11], s[0:1], s20, v17, 0
	v_add_co_u32_e64 v39, s[0:1], v2, v7
	v_mov_b32_e32 v19, v9
	v_mov_b32_e32 v0, v11
	v_add_u32_e32 v9, 0x30c, v1
	v_addc_co_u32_e64 v40, s[0:1], v41, v8, s[0:1]
	v_mad_u64_u32 v[15:16], s[0:1], s21, v17, v[0:1]
	v_mad_u64_u32 v[20:21], s[0:1], s20, v9, 0
	v_lshlrev_b64 v[7:8], 3, v[18:19]
	v_mov_b32_e32 v11, v15
	v_add_co_u32_e64 v45, s[0:1], v2, v7
	v_mov_b32_e32 v0, v21
	v_addc_co_u32_e64 v46, s[0:1], v41, v8, s[0:1]
	v_lshlrev_b64 v[7:8], 3, v[10:11]
	v_mad_u64_u32 v[9:10], s[0:1], s21, v9, v[0:1]
	v_add_u32_e32 v19, 0xd0, v1
	v_mad_u64_u32 v[10:11], s[0:1], s20, v19, 0
	v_add_co_u32_e64 v70, s[0:1], v2, v7
	v_mov_b32_e32 v21, v9
	v_mov_b32_e32 v0, v11
	v_or_b32_e32 v9, 0x340, v1
	v_addc_co_u32_e64 v71, s[0:1], v41, v8, s[0:1]
	v_mad_u64_u32 v[15:16], s[0:1], s21, v19, v[0:1]
	v_mad_u64_u32 v[22:23], s[0:1], s20, v9, 0
	v_lshlrev_b64 v[7:8], 3, v[20:21]
	v_mov_b32_e32 v11, v15
	v_add_co_u32_e64 v72, s[0:1], v2, v7
	v_mov_b32_e32 v0, v23
	v_addc_co_u32_e64 v73, s[0:1], v41, v8, s[0:1]
	v_lshlrev_b64 v[7:8], 3, v[10:11]
	v_mad_u64_u32 v[9:10], s[0:1], s21, v9, v[0:1]
	v_add_u32_e32 v21, 0x104, v1
	v_mad_u64_u32 v[10:11], s[0:1], s20, v21, 0
	v_add_co_u32_e64 v74, s[0:1], v2, v7
	v_mov_b32_e32 v23, v9
	v_mov_b32_e32 v0, v11
	v_add_u32_e32 v13, 0x374, v1
	v_addc_co_u32_e64 v75, s[0:1], v41, v8, s[0:1]
	v_lshlrev_b64 v[7:8], 3, v[22:23]
	v_mad_u64_u32 v[15:16], s[0:1], s21, v21, v[0:1]
	v_mad_u64_u32 v[22:23], s[0:1], s20, v13, 0
	v_add_co_u32_e64 v76, s[0:1], v2, v7
	v_mov_b32_e32 v11, v15
	v_mov_b32_e32 v0, v23
	v_addc_co_u32_e64 v77, s[0:1], v41, v8, s[0:1]
	v_lshlrev_b64 v[8:9], 3, v[10:11]
	v_mad_u64_u32 v[10:11], s[0:1], s21, v13, v[0:1]
	v_add_u32_e32 v7, 0x138, v1
	v_mad_u64_u32 v[15:16], s[0:1], s20, v7, 0
	v_add_co_u32_e64 v78, s[0:1], v2, v8
	v_mov_b32_e32 v23, v10
	v_add_u32_e32 v13, 0x3a8, v1
	v_addc_co_u32_e64 v79, s[0:1], v41, v9, s[0:1]
	v_lshlrev_b64 v[8:9], 3, v[22:23]
	v_mad_u64_u32 v[22:23], s[0:1], s20, v13, 0
	v_mov_b32_e32 v0, v16
	v_mad_u64_u32 v[10:11], s[0:1], s21, v7, v[0:1]
	v_add_co_u32_e64 v80, s[0:1], v2, v8
	v_mov_b32_e32 v0, v23
	v_addc_co_u32_e64 v81, s[0:1], v41, v9, s[0:1]
	v_mad_u64_u32 v[8:9], s[0:1], s21, v13, v[0:1]
	v_mov_b32_e32 v16, v10
	v_add_u32_e32 v9, 0x16c, v1
	v_lshlrev_b64 v[10:11], 3, v[15:16]
	v_mad_u64_u32 v[15:16], s[0:1], s20, v9, 0
	v_add_co_u32_e64 v82, s[0:1], v2, v10
	v_mov_b32_e32 v23, v8
	v_mov_b32_e32 v0, v16
	v_addc_co_u32_e64 v83, s[0:1], v41, v11, s[0:1]
	v_lshlrev_b64 v[10:11], 3, v[22:23]
	v_mad_u64_u32 v[22:23], s[0:1], s21, v9, v[0:1]
	v_add_u32_e32 v8, 0x3dc, v1
	v_mad_u64_u32 v[23:24], s[0:1], s20, v8, 0
	v_add_co_u32_e64 v84, s[0:1], v2, v10
	v_mov_b32_e32 v0, v24
	v_addc_co_u32_e64 v85, s[0:1], v41, v11, s[0:1]
	v_mad_u64_u32 v[24:25], s[0:1], s21, v8, v[0:1]
	v_add_u32_e32 v10, 0x1a0, v1
	v_mad_u64_u32 v[25:26], s[0:1], s20, v10, 0
	v_mov_b32_e32 v16, v22
	v_lshlrev_b64 v[15:16], 3, v[15:16]
	v_mov_b32_e32 v0, v26
	v_add_co_u32_e64 v86, s[0:1], v2, v15
	v_addc_co_u32_e64 v87, s[0:1], v41, v16, s[0:1]
	v_lshlrev_b64 v[15:16], 3, v[23:24]
	v_mad_u64_u32 v[22:23], s[0:1], s21, v10, v[0:1]
	v_add_u32_e32 v8, 0x410, v1
	v_mad_u64_u32 v[23:24], s[0:1], s20, v8, 0
	v_add_co_u32_e64 v88, s[0:1], v2, v15
	v_mov_b32_e32 v26, v22
	v_mov_b32_e32 v0, v24
	v_addc_co_u32_e64 v89, s[0:1], v41, v16, s[0:1]
	v_lshlrev_b64 v[15:16], 3, v[25:26]
	v_mad_u64_u32 v[24:25], s[0:1], s21, v8, v[0:1]
	v_add_u32_e32 v11, 0x1d4, v1
	v_mad_u64_u32 v[25:26], s[0:1], s20, v11, 0
	v_add_co_u32_e64 v90, s[0:1], v2, v15
	v_mov_b32_e32 v0, v26
	v_addc_co_u32_e64 v91, s[0:1], v41, v16, s[0:1]
	v_lshlrev_b64 v[15:16], 3, v[23:24]
	v_mad_u64_u32 v[22:23], s[0:1], s21, v11, v[0:1]
	v_add_u32_e32 v8, 0x444, v1
	v_mad_u64_u32 v[23:24], s[0:1], s20, v8, 0
	v_add_co_u32_e64 v92, s[0:1], v2, v15
	v_mov_b32_e32 v0, v24
	v_addc_co_u32_e64 v93, s[0:1], v41, v16, s[0:1]
	v_mad_u64_u32 v[15:16], s[0:1], s21, v8, v[0:1]
	v_add_u32_e32 v16, 0x208, v1
	v_mad_u64_u32 v[27:28], s[0:1], s20, v16, 0
	v_mov_b32_e32 v26, v22
	v_lshlrev_b64 v[25:26], 3, v[25:26]
	v_mov_b32_e32 v24, v15
	v_add_co_u32_e64 v94, s[0:1], v2, v25
	v_mov_b32_e32 v0, v28
	v_addc_co_u32_e64 v95, s[0:1], v41, v26, s[0:1]
	v_lshlrev_b64 v[22:23], 3, v[23:24]
	v_mad_u64_u32 v[24:25], s[0:1], s21, v16, v[0:1]
	v_add_u32_e32 v8, 0x478, v1
	v_mad_u64_u32 v[25:26], s[0:1], s20, v8, 0
	v_add_co_u32_e64 v96, s[0:1], v2, v22
	v_mov_b32_e32 v0, v26
	v_addc_co_u32_e64 v97, s[0:1], v41, v23, s[0:1]
	v_mad_u64_u32 v[22:23], s[0:1], s21, v8, v[0:1]
	v_add_u32_e32 v23, 0x23c, v1
	v_mad_u64_u32 v[29:30], s[0:1], s20, v23, 0
	v_mov_b32_e32 v28, v24
	v_lshlrev_b64 v[27:28], 3, v[27:28]
	v_mov_b32_e32 v26, v22
	v_add_co_u32_e64 v98, s[0:1], v2, v27
	v_mov_b32_e32 v0, v30
	v_addc_co_u32_e64 v99, s[0:1], v41, v28, s[0:1]
	v_lshlrev_b64 v[24:25], 3, v[25:26]
	v_mad_u64_u32 v[26:27], s[0:1], s21, v23, v[0:1]
	v_add_u32_e32 v8, 0x4ac, v1
	v_mad_u64_u32 v[27:28], s[0:1], s20, v8, 0
	v_add_co_u32_e64 v100, s[0:1], v2, v24
	v_mov_b32_e32 v30, v26
	v_mov_b32_e32 v0, v28
	v_addc_co_u32_e64 v101, s[0:1], v41, v25, s[0:1]
	v_lshlrev_b64 v[24:25], 3, v[29:30]
	v_mad_u64_u32 v[28:29], s[0:1], s21, v8, v[0:1]
	v_add_co_u32_e64 v102, s[0:1], v2, v24
	v_addc_co_u32_e64 v103, s[0:1], v41, v25, s[0:1]
	v_lshlrev_b64 v[24:25], 3, v[27:28]
	v_add_co_u32_e64 v104, s[0:1], v2, v24
	v_addc_co_u32_e64 v105, s[0:1], v41, v25, s[0:1]
	global_load_dwordx2 v[41:42], v[31:32], off
	global_load_dwordx2 v[43:44], v[33:34], off
	;; [unrolled: 1-line block ×15, first 2 shown]
                                        ; kill: killed $vgpr70 killed $vgpr71
                                        ; kill: killed $vgpr82 killed $vgpr83
                                        ; kill: killed $vgpr72 killed $vgpr73
                                        ; kill: killed $vgpr84 killed $vgpr85
                                        ; kill: killed $vgpr35 killed $vgpr36
                                        ; kill: killed $vgpr74 killed $vgpr75
                                        ; kill: killed $vgpr86 killed $vgpr87
                                        ; kill: killed $vgpr31 killed $vgpr32
                                        ; kill: killed $vgpr37 killed $vgpr38
                                        ; kill: killed $vgpr76 killed $vgpr77
                                        ; kill: killed $vgpr33 killed $vgpr34
                                        ; kill: killed $vgpr39 killed $vgpr40
                                        ; kill: killed $vgpr78 killed $vgpr79
                                        ; kill: killed $vgpr45 killed $vgpr46
                                        ; kill: killed $vgpr80 killed $vgpr81
	global_load_dwordx2 v[31:32], v[88:89], off
	global_load_dwordx2 v[70:71], v[90:91], off
	;; [unrolled: 1-line block ×9, first 2 shown]
.LBB0_13:
	s_or_b64 exec, exec, s[6:7]
	s_waitcnt vmcnt(22)
	v_sub_f32_e32 v98, v42, v44
	v_sub_f32_e32 v45, v41, v43
	v_fma_f32 v97, v42, 2.0, -v98
	s_waitcnt vmcnt(20)
	v_sub_f32_e32 v42, v66, v29
	v_fma_f32 v44, v41, 2.0, -v45
	v_lshl_add_u32 v78, v1, 3, 0
	v_fma_f32 v41, v66, 2.0, -v42
	v_lshl_add_u32 v29, v12, 3, 0
	ds_write_b64 v78, v[44:45]
	ds_write_b64 v29, v[41:42]
	s_waitcnt vmcnt(18)
	v_sub_f32_e32 v42, v59, v27
	v_fma_f32 v41, v59, 2.0, -v42
	v_lshl_add_u32 v27, v14, 3, 0
	ds_write_b64 v27, v[41:42]
	s_waitcnt vmcnt(16)
	v_sub_f32_e32 v42, v54, v52
	v_fma_f32 v41, v54, 2.0, -v42
	v_lshl_add_u32 v2, v17, 3, 0
	;; [unrolled: 5-line block ×3, first 2 shown]
	ds_write_b64 v8, v[41:42]
	s_waitcnt vmcnt(12)
	v_sub_f32_e32 v42, v61, v47
	s_waitcnt vmcnt(10)
	v_sub_f32_e32 v25, v63, v25
	v_fma_f32 v41, v61, 2.0, -v42
	v_lshl_add_u32 v13, v21, 3, 0
	v_fma_f32 v24, v63, 2.0, -v25
	v_lshl_add_u32 v15, v7, 3, 0
	ds_write_b64 v13, v[41:42]
	ds_write_b64 v15, v[24:25]
	s_waitcnt vmcnt(8)
	v_sub_f32_e32 v25, v68, v31
	v_fma_f32 v24, v68, 2.0, -v25
	v_lshl_add_u32 v20, v9, 3, 0
	ds_write_b64 v20, v[24:25]
	s_waitcnt vmcnt(6)
	v_sub_f32_e32 v25, v70, v33
	v_fma_f32 v24, v70, 2.0, -v25
	v_lshl_add_u32 v18, v10, 3, 0
	;; [unrolled: 5-line block ×5, first 2 shown]
	ds_write_b64 v82, v[24:25]
	v_lshlrev_b32_e32 v92, 2, v10
	v_sub_f32_e32 v25, v67, v30
	v_lshl_add_u32 v0, v1, 2, 0
	v_lshlrev_b32_e32 v83, 2, v17
	v_lshlrev_b32_e32 v84, 2, v19
	;; [unrolled: 1-line block ×5, first 2 shown]
	v_sub_u32_e32 v70, v18, v92
	v_lshlrev_b32_e32 v93, 2, v11
	v_lshlrev_b32_e32 v94, 2, v16
	;; [unrolled: 1-line block ×3, first 2 shown]
	v_fma_f32 v24, v67, 2.0, -v25
	s_load_dwordx2 s[4:5], s[4:5], 0x0
	s_waitcnt lgkmcnt(0)
	; wave barrier
	s_waitcnt lgkmcnt(0)
	v_add_u32_e32 v86, 0x800, v0
	v_lshl_add_u32 v79, v12, 2, 0
	v_lshl_add_u32 v80, v14, 2, 0
	v_add_u32_e32 v88, 0xa00, v0
	v_sub_u32_e32 v41, v2, v83
	v_sub_u32_e32 v54, v8, v84
	v_add_u32_e32 v87, 0xc00, v0
	v_sub_u32_e32 v59, v13, v85
	v_sub_u32_e32 v61, v15, v90
	;; [unrolled: 1-line block ×3, first 2 shown]
	ds_read_b32 v68, v0
	ds_read_b32 v89, v79
	;; [unrolled: 1-line block ×8, first 2 shown]
	v_add_u32_e32 v96, 0x1000, v0
	v_sub_u32_e32 v72, v22, v93
	v_sub_u32_e32 v74, v81, v94
	v_sub_u32_e32 v76, v82, v95
	ds_read_b32 v115, v70
	ds_read_b32 v116, v72
	;; [unrolled: 1-line block ×4, first 2 shown]
	ds_read2_b32 v[65:66], v86 offset0:112 offset1:164
	ds_read2_b32 v[56:57], v88 offset0:88 offset1:140
	;; [unrolled: 1-line block ×6, first 2 shown]
	s_waitcnt lgkmcnt(0)
	; wave barrier
	s_waitcnt lgkmcnt(0)
	ds_write_b64 v78, v[97:98]
	ds_write_b64 v29, v[24:25]
	v_sub_f32_e32 v25, v60, v28
	v_fma_f32 v24, v60, 2.0, -v25
	ds_write_b64 v27, v[24:25]
	v_sub_f32_e32 v25, v55, v53
	v_fma_f32 v24, v55, 2.0, -v25
	v_sub_f32_e32 v28, v58, v51
	v_sub_f32_e32 v30, v62, v48
	;; [unrolled: 1-line block ×8, first 2 shown]
	v_fma_f32 v27, v58, 2.0, -v28
	v_fma_f32 v29, v62, 2.0, -v30
	v_fma_f32 v51, v64, 2.0, -v52
	v_fma_f32 v31, v69, 2.0, -v32
	v_fma_f32 v33, v71, 2.0, -v34
	v_fma_f32 v35, v73, 2.0, -v36
	v_fma_f32 v37, v75, 2.0, -v38
	v_fma_f32 v39, v77, 2.0, -v40
	ds_write_b64 v2, v[24:25]
	ds_write_b64 v8, v[27:28]
	;; [unrolled: 1-line block ×9, first 2 shown]
	v_and_b32_e32 v28, 1, v1
	v_lshlrev_b32_e32 v24, 3, v28
	s_waitcnt lgkmcnt(0)
	; wave barrier
	s_waitcnt lgkmcnt(0)
	global_load_dwordx2 v[26:27], v24, s[12:13]
	ds_read_b32 v102, v54
	ds_read_b32 v101, v59
	;; [unrolled: 1-line block ×4, first 2 shown]
	ds_read2_b32 v[58:59], v86 offset0:112 offset1:164
	ds_read_b32 v99, v70
	ds_read_b32 v97, v72
	;; [unrolled: 1-line block ×4, first 2 shown]
	s_movk_i32 s0, 0x7c
	v_lshlrev_b32_e32 v25, 1, v1
	v_and_or_b32 v30, v25, s0, v28
	v_lshl_add_u32 v107, v30, 2, 0
	ds_read_b32 v106, v0
	ds_read_b32 v104, v79
	;; [unrolled: 1-line block ×4, first 2 shown]
	ds_read2_b32 v[77:78], v88 offset0:88 offset1:140
	ds_read2_b32 v[75:76], v87 offset0:64 offset1:116
	;; [unrolled: 1-line block ×5, first 2 shown]
	s_waitcnt lgkmcnt(0)
	; wave barrier
	s_waitcnt lgkmcnt(0)
	s_movk_i32 s0, 0xfc
	s_movk_i32 s1, 0x2fc
	v_lshlrev_b32_e32 v40, 1, v7
	v_and_or_b32 v40, v40, s1, v28
	v_lshlrev_b32_e32 v41, 1, v11
	v_lshlrev_b32_e32 v51, 1, v16
	;; [unrolled: 1-line block ×3, first 2 shown]
	v_add_u32_e32 v120, 0x200, v0
	v_add_u32_e32 v121, 0x400, v0
	;; [unrolled: 1-line block ×3, first 2 shown]
	s_waitcnt vmcnt(0)
	v_mul_f32_e32 v24, v58, v27
	v_fmac_f32_e32 v24, v65, v26
	v_sub_f32_e32 v24, v68, v24
	v_fma_f32 v29, v68, 2.0, -v24
	ds_write2_b32 v107, v29, v24 offset1:2
	v_mul_f32_e32 v24, v59, v27
	v_fmac_f32_e32 v24, v66, v26
	v_sub_f32_e32 v29, v89, v24
	v_lshlrev_b32_e32 v24, 1, v12
	v_and_or_b32 v31, v24, s0, v28
	v_fma_f32 v30, v89, 2.0, -v29
	v_lshl_add_u32 v108, v31, 2, 0
	ds_write2_b32 v108, v30, v29 offset1:2
	v_mul_f32_e32 v29, v77, v27
	v_fmac_f32_e32 v29, v56, v26
	s_movk_i32 s0, 0x1fc
	v_lshlrev_b32_e32 v31, 1, v14
	v_sub_f32_e32 v29, v109, v29
	v_and_or_b32 v31, v31, s0, v28
	v_fma_f32 v30, v109, 2.0, -v29
	v_lshl_add_u32 v109, v31, 2, 0
	ds_write2_b32 v109, v30, v29 offset1:2
	v_mul_f32_e32 v29, v78, v27
	v_fmac_f32_e32 v29, v57, v26
	v_lshlrev_b32_e32 v31, 1, v17
	v_sub_f32_e32 v29, v110, v29
	v_and_or_b32 v31, v31, s0, v28
	v_fma_f32 v30, v110, 2.0, -v29
	v_lshl_add_u32 v110, v31, 2, 0
	ds_write2_b32 v110, v30, v29 offset1:2
	v_mul_f32_e32 v29, v75, v27
	v_fmac_f32_e32 v29, v49, v26
	s_movk_i32 s0, 0x3fc
	v_lshlrev_b32_e32 v31, 1, v19
	v_sub_f32_e32 v29, v111, v29
	v_and_or_b32 v31, v31, s0, v28
	v_fma_f32 v30, v111, 2.0, -v29
	v_lshl_add_u32 v111, v31, 2, 0
	ds_write2_b32 v111, v30, v29 offset1:2
	v_mul_f32_e32 v29, v76, v27
	v_fmac_f32_e32 v29, v50, v26
	v_lshlrev_b32_e32 v31, 1, v21
	v_sub_f32_e32 v29, v112, v29
	v_and_or_b32 v31, v31, s1, v28
	v_fma_f32 v30, v112, 2.0, -v29
	v_lshl_add_u32 v112, v31, 2, 0
	ds_write2_b32 v112, v30, v29 offset1:2
	v_mul_f32_e32 v29, v74, v27
	v_fmac_f32_e32 v29, v47, v26
	v_sub_f32_e32 v39, v114, v29
	v_mul_f32_e32 v29, v71, v27
	v_fmac_f32_e32 v29, v44, v26
	v_sub_f32_e32 v37, v115, v29
	v_mul_f32_e32 v29, v72, v27
	v_fmac_f32_e32 v29, v45, v26
	v_sub_f32_e32 v35, v116, v29
	v_mul_f32_e32 v29, v69, v27
	v_fmac_f32_e32 v29, v42, v26
	v_sub_f32_e32 v33, v117, v29
	v_mul_f32_e32 v29, v70, v27
	v_fmac_f32_e32 v29, v43, v26
	v_sub_f32_e32 v31, v118, v29
	v_mul_f32_e32 v29, v73, v27
	v_fmac_f32_e32 v29, v46, v26
	v_sub_f32_e32 v89, v113, v29
	v_fma_f32 v29, v113, 2.0, -v89
	v_lshl_add_u32 v113, v40, 2, 0
	ds_write2_b32 v113, v29, v89 offset1:2
	v_lshlrev_b32_e32 v29, 1, v9
	v_lshlrev_b32_e32 v40, 1, v10
	v_and_or_b32 v29, v29, s0, v28
	v_and_or_b32 v40, v40, s0, v28
	s_movk_i32 s0, 0x7fc
	v_and_or_b32 v41, v41, s0, v28
	s_movk_i32 s0, 0x4fc
	v_and_or_b32 v51, v51, s0, v28
	v_and_or_b32 v28, v52, s0, v28
	v_fma_f32 v38, v114, 2.0, -v39
	v_fma_f32 v36, v115, 2.0, -v37
	v_fma_f32 v34, v116, 2.0, -v35
	v_fma_f32 v32, v117, 2.0, -v33
	v_fma_f32 v30, v118, 2.0, -v31
	v_lshl_add_u32 v114, v29, 2, 0
	v_lshl_add_u32 v115, v40, 2, 0
	;; [unrolled: 1-line block ×5, first 2 shown]
	ds_write2_b32 v114, v38, v39 offset1:2
	ds_write2_b32 v115, v36, v37 offset1:2
	;; [unrolled: 1-line block ×5, first 2 shown]
	s_waitcnt lgkmcnt(0)
	; wave barrier
	s_waitcnt lgkmcnt(0)
	ds_read_b32 v98, v0 offset:4608
	ds_read2_b32 v[28:29], v0 offset1:96
	ds_read2_b32 v[67:68], v120 offset0:64 offset1:160
	ds_read2_b32 v[62:63], v121 offset0:128 offset1:224
	;; [unrolled: 1-line block ×3, first 2 shown]
	ds_read2_b32 v[53:54], v87 offset1:96
	ds_read2_b32 v[51:52], v119 offset0:64 offset1:160
	v_cmp_gt_u32_e64 s[0:1], 44, v1
                                        ; implicit-def: $vgpr41
	s_and_saveexec_b64 s[6:7], s[0:1]
	s_cbranch_execz .LBB0_15
; %bb.14:
	ds_read_b32 v89, v79
	ds_read2_b32 v[38:39], v0 offset0:148 offset1:244
	ds_read2_b32 v[36:37], v121 offset0:84 offset1:180
	;; [unrolled: 1-line block ×6, first 2 shown]
.LBB0_15:
	s_or_b64 exec, exec, s[6:7]
	v_mul_f32_e32 v65, v65, v27
	v_fma_f32 v58, v58, v26, -v65
	v_mul_f32_e32 v65, v66, v27
	v_mul_f32_e32 v56, v56, v27
	;; [unrolled: 1-line block ×6, first 2 shown]
	v_fma_f32 v59, v59, v26, -v65
	v_fma_f32 v56, v77, v26, -v56
	;; [unrolled: 1-line block ×6, first 2 shown]
	v_mul_f32_e32 v47, v47, v27
	v_mul_f32_e32 v44, v44, v27
	;; [unrolled: 1-line block ×5, first 2 shown]
	v_fma_f32 v47, v74, v26, -v47
	v_fma_f32 v44, v71, v26, -v44
	;; [unrolled: 1-line block ×5, first 2 shown]
	v_sub_f32_e32 v27, v106, v58
	v_sub_f32_e32 v59, v104, v59
	;; [unrolled: 1-line block ×7, first 2 shown]
	v_fma_f32 v65, v106, 2.0, -v27
	v_fma_f32 v69, v104, 2.0, -v59
	;; [unrolled: 1-line block ×7, first 2 shown]
	v_sub_f32_e32 v58, v55, v47
	v_sub_f32_e32 v56, v99, v44
	;; [unrolled: 1-line block ×5, first 2 shown]
	v_fma_f32 v57, v55, 2.0, -v58
	v_fma_f32 v55, v99, 2.0, -v56
	;; [unrolled: 1-line block ×5, first 2 shown]
	s_waitcnt lgkmcnt(0)
	; wave barrier
	s_waitcnt lgkmcnt(0)
	ds_write2_b32 v107, v65, v27 offset1:2
	ds_write2_b32 v108, v69, v59 offset1:2
	;; [unrolled: 1-line block ×12, first 2 shown]
	s_waitcnt lgkmcnt(0)
	; wave barrier
	s_waitcnt lgkmcnt(0)
	ds_read2_b32 v[26:27], v0 offset1:96
	ds_read2_b32 v[75:76], v120 offset0:64 offset1:160
	ds_read2_b32 v[73:74], v121 offset0:128 offset1:224
	;; [unrolled: 1-line block ×3, first 2 shown]
	ds_read2_b32 v[69:70], v87 offset1:96
	ds_read2_b32 v[64:65], v119 offset0:64 offset1:160
	ds_read_b32 v99, v0 offset:4608
                                        ; implicit-def: $vgpr49
	s_and_saveexec_b64 s[6:7], s[0:1]
	s_cbranch_execz .LBB0_17
; %bb.16:
	v_add_u32_e32 v42, 0x400, v0
	ds_read_b32 v66, v79
	ds_read2_b32 v[57:58], v0 offset0:148 offset1:244
	ds_read2_b32 v[55:56], v42 offset0:84 offset1:180
	v_add_u32_e32 v42, 0x800, v0
	ds_read2_b32 v[46:47], v42 offset0:20 offset1:116
	v_add_u32_e32 v42, 0xa00, v0
	;; [unrolled: 2-line block ×3, first 2 shown]
	v_add_u32_e32 v48, 0x1000, v0
	ds_read2_b32 v[42:43], v42 offset0:148 offset1:244
	ds_read2_b32 v[48:49], v48 offset0:84 offset1:180
.LBB0_17:
	s_or_b64 exec, exec, s[6:7]
	v_and_b32_e32 v59, 3, v1
	v_sub_u32_e32 v86, 0, v85
	v_sub_u32_e32 v85, 0, v90
	v_mul_u32_u24_e32 v90, 12, v59
	v_sub_u32_e32 v88, 0, v83
	v_sub_u32_e32 v83, 0, v92
	v_lshlrev_b32_e32 v92, 3, v90
	global_load_dwordx4 v[112:115], v92, s[12:13] offset:64
	global_load_dwordx4 v[116:119], v92, s[12:13] offset:48
	;; [unrolled: 1-line block ×6, first 2 shown]
	v_sub_u32_e32 v87, 0, v84
	v_sub_u32_e32 v84, 0, v91
	v_sub_u32_e32 v50, 0, v95
	v_sub_u32_e32 v77, 0, v94
	v_sub_u32_e32 v78, 0, v93
	s_mov_b32 s8, 0x3f62ad3f
	s_mov_b32 s9, 0x3f116cb1
	;; [unrolled: 1-line block ×6, first 2 shown]
	s_waitcnt lgkmcnt(0)
	; wave barrier
	s_waitcnt vmcnt(5) lgkmcnt(0)
	v_mul_f32_e32 v94, v69, v115
	s_waitcnt vmcnt(4)
	v_mul_f32_e32 v90, v74, v117
	s_waitcnt vmcnt(3)
	;; [unrolled: 2-line block ×3, first 2 shown]
	v_mul_f32_e32 v106, v27, v125
	v_fmac_f32_e32 v106, v29, v124
	v_mul_f32_e32 v29, v29, v125
	v_fma_f32 v107, v27, v124, -v29
	v_mul_f32_e32 v27, v67, v127
	v_fma_f32 v103, v75, v126, -v27
	;; [unrolled: 2-line block ×8, first 2 shown]
	s_waitcnt vmcnt(0)
	v_mul_f32_e32 v27, v54, v133
	v_fma_f32 v105, v70, v132, -v27
	v_mul_f32_e32 v108, v64, v135
	v_mul_f32_e32 v27, v51, v135
	v_fmac_f32_e32 v108, v51, v134
	v_fma_f32 v51, v64, v134, -v27
	v_mul_f32_e32 v109, v65, v129
	v_mul_f32_e32 v27, v52, v129
	v_fmac_f32_e32 v109, v52, v128
	v_fma_f32 v52, v65, v128, -v27
	v_mul_f32_e32 v27, v98, v131
	v_fma_f32 v111, v99, v130, -v27
	v_mul_f32_e32 v27, v38, v125
	v_mul_f32_e32 v96, v73, v123
	v_fma_f32 v73, v57, v124, -v27
	v_mul_f32_e32 v27, v39, v127
	v_fma_f32 v69, v58, v126, -v27
	v_mul_f32_e32 v27, v36, v121
	v_fmac_f32_e32 v90, v63, v116
	v_mul_f32_e32 v63, v55, v121
	v_fma_f32 v64, v55, v120, -v27
	v_mul_f32_e32 v55, v44, v113
	v_mul_f32_e32 v65, v42, v133
	v_mul_f32_e32 v102, v75, v127
	v_mul_f32_e32 v29, v71, v119
	v_mul_f32_e32 v27, v37, v123
	v_fmac_f32_e32 v55, v32, v112
	v_mul_f32_e32 v32, v32, v113
	v_fmac_f32_e32 v65, v30, v132
	v_mul_f32_e32 v30, v30, v133
	v_fmac_f32_e32 v102, v67, v126
	v_fmac_f32_e32 v29, v60, v118
	v_mul_f32_e32 v75, v72, v113
	v_mul_f32_e32 v110, v99, v131
	;; [unrolled: 1-line block ×4, first 2 shown]
	v_fma_f32 v60, v56, v122, -v27
	v_mul_f32_e32 v27, v34, v117
	v_fma_f32 v56, v44, v112, -v32
	v_mul_f32_e32 v32, v33, v115
	;; [unrolled: 2-line block ×3, first 2 shown]
	v_fmac_f32_e32 v100, v68, v120
	v_fmac_f32_e32 v96, v62, v122
	;; [unrolled: 1-line block ×5, first 2 shown]
	v_mul_f32_e32 v68, v58, v127
	v_mul_f32_e32 v53, v46, v117
	v_fma_f32 v58, v46, v116, -v27
	v_mul_f32_e32 v27, v47, v119
	v_mul_f32_e32 v61, v45, v115
	v_fma_f32 v62, v45, v114, -v32
	v_fma_f32 v72, v43, v134, -v30
	v_mul_f32_e32 v30, v40, v129
	v_mul_f32_e32 v98, v49, v131
	v_sub_f32_e32 v32, v107, v111
	v_mul_f32_e32 v104, v70, v133
	v_fmac_f32_e32 v68, v39, v126
	v_fmac_f32_e32 v57, v37, v122
	;; [unrolled: 1-line block ×4, first 2 shown]
	v_mul_f32_e32 v34, v35, v119
	v_fmac_f32_e32 v61, v33, v114
	v_mul_f32_e32 v70, v43, v135
	v_mul_f32_e32 v92, v48, v129
	v_fma_f32 v93, v48, v128, -v30
	v_fmac_f32_e32 v98, v41, v130
	v_mul_f32_e32 v30, v41, v131
	v_mul_f32_e32 v33, 0xbeedf032, v32
	;; [unrolled: 1-line block ×7, first 2 shown]
	v_fmac_f32_e32 v104, v54, v132
	v_fmac_f32_e32 v71, v38, v124
	;; [unrolled: 1-line block ×3, first 2 shown]
	v_fma_f32 v54, v47, v118, -v34
	v_fmac_f32_e32 v70, v31, v134
	v_fmac_f32_e32 v92, v40, v128
	v_add_f32_e32 v31, v106, v110
	v_mov_b32_e32 v34, v33
	v_mov_b32_e32 v36, v35
	;; [unrolled: 1-line block ×6, first 2 shown]
	v_fmac_f32_e32 v34, 0x3f62ad3f, v31
	v_fma_f32 v33, v31, s8, -v33
	v_fmac_f32_e32 v36, 0x3f116cb1, v31
	v_fma_f32 v35, v31, s9, -v35
	v_fmac_f32_e32 v38, 0x3df6dbef, v31
	v_fma_f32 v37, v31, s14, -v37
	v_fmac_f32_e32 v40, 0xbeb58ec6, v31
	v_fma_f32 v39, v31, s15, -v39
	v_fmac_f32_e32 v42, 0xbf3f9e67, v31
	v_fma_f32 v41, v31, s16, -v41
	v_fmac_f32_e32 v43, 0xbf788fa5, v31
	v_fma_f32 v31, v31, s17, -v32
	v_sub_f32_e32 v32, v103, v52
	v_fma_f32 v99, v49, v130, -v30
	v_add_f32_e32 v30, v28, v106
	v_add_f32_e32 v34, v28, v34
	;; [unrolled: 1-line block ×14, first 2 shown]
	v_mul_f32_e32 v44, 0xbf52af12, v32
	v_mov_b32_e32 v45, v44
	v_fma_f32 v44, v31, s9, -v44
	v_fmac_f32_e32 v45, 0x3f116cb1, v31
	v_add_f32_e32 v33, v44, v33
	v_mul_f32_e32 v44, 0xbf6f5d39, v32
	v_add_f32_e32 v34, v45, v34
	v_mov_b32_e32 v45, v44
	v_fma_f32 v44, v31, s15, -v44
	v_fmac_f32_e32 v45, 0xbeb58ec6, v31
	v_add_f32_e32 v35, v44, v35
	v_mul_f32_e32 v44, 0xbe750f2a, v32
	v_add_f32_e32 v36, v45, v36
	v_mov_b32_e32 v45, v44
	v_fma_f32 v44, v31, s17, -v44
	v_fmac_f32_e32 v45, 0xbf788fa5, v31
	v_add_f32_e32 v37, v44, v37
	v_mul_f32_e32 v44, 0x3f29c268, v32
	v_add_f32_e32 v38, v45, v38
	v_mov_b32_e32 v45, v44
	v_fma_f32 v44, v31, s16, -v44
	v_fmac_f32_e32 v45, 0xbf3f9e67, v31
	v_add_f32_e32 v39, v44, v39
	v_mul_f32_e32 v44, 0x3f7e222b, v32
	v_add_f32_e32 v40, v45, v40
	v_mov_b32_e32 v45, v44
	v_fma_f32 v44, v31, s14, -v44
	v_mul_f32_e32 v32, 0x3eedf032, v32
	v_add_f32_e32 v41, v44, v41
	v_mov_b32_e32 v44, v32
	v_fmac_f32_e32 v45, 0x3df6dbef, v31
	v_fmac_f32_e32 v44, 0x3f62ad3f, v31
	v_fma_f32 v31, v31, s8, -v32
	v_sub_f32_e32 v32, v101, v51
	v_add_f32_e32 v43, v44, v43
	v_add_f32_e32 v28, v31, v28
	v_add_f32_e32 v31, v100, v108
	v_mul_f32_e32 v44, 0xbf7e222b, v32
	v_add_f32_e32 v42, v45, v42
	v_mov_b32_e32 v45, v44
	v_fma_f32 v44, v31, s14, -v44
	v_fmac_f32_e32 v45, 0x3df6dbef, v31
	v_add_f32_e32 v33, v44, v33
	v_mul_f32_e32 v44, 0xbe750f2a, v32
	v_add_f32_e32 v34, v45, v34
	v_mov_b32_e32 v45, v44
	v_fma_f32 v44, v31, s17, -v44
	v_fmac_f32_e32 v45, 0xbf788fa5, v31
	v_add_f32_e32 v35, v44, v35
	v_mul_f32_e32 v44, 0x3f6f5d39, v32
	v_add_f32_e32 v36, v45, v36
	v_mov_b32_e32 v45, v44
	v_fma_f32 v44, v31, s15, -v44
	v_fmac_f32_e32 v45, 0xbeb58ec6, v31
	v_add_f32_e32 v37, v44, v37
	v_mul_f32_e32 v44, 0x3eedf032, v32
	v_add_f32_e32 v38, v45, v38
	v_mov_b32_e32 v45, v44
	v_fma_f32 v44, v31, s8, -v44
	v_fmac_f32_e32 v45, 0x3f62ad3f, v31
	v_add_f32_e32 v39, v44, v39
	v_mul_f32_e32 v44, 0xbf52af12, v32
	v_add_f32_e32 v40, v45, v40
	v_mov_b32_e32 v45, v44
	v_fma_f32 v44, v31, s9, -v44
	v_mul_f32_e32 v32, 0xbf29c268, v32
	v_add_f32_e32 v41, v44, v41
	v_mov_b32_e32 v44, v32
	v_fmac_f32_e32 v45, 0x3f116cb1, v31
	v_fmac_f32_e32 v44, 0xbf3f9e67, v31
	v_fma_f32 v31, v31, s16, -v32
	v_sub_f32_e32 v32, v97, v105
	v_add_f32_e32 v43, v44, v43
	v_add_f32_e32 v28, v31, v28
	v_add_f32_e32 v31, v96, v104
	v_mul_f32_e32 v44, 0xbf6f5d39, v32
	v_add_f32_e32 v42, v45, v42
	;; [unrolled: 38-line block ×4, first 2 shown]
	v_mov_b32_e32 v45, v44
	v_fma_f32 v44, v31, s17, -v44
	v_fmac_f32_e32 v45, 0xbf788fa5, v31
	v_add_f32_e32 v33, v44, v33
	v_mul_f32_e32 v44, 0x3eedf032, v32
	v_add_f32_e32 v34, v45, v34
	v_mov_b32_e32 v45, v44
	v_fma_f32 v44, v31, s8, -v44
	v_fmac_f32_e32 v45, 0x3f62ad3f, v31
	v_add_f32_e32 v35, v44, v35
	v_mul_f32_e32 v44, 0xbf29c268, v32
	v_add_f32_e32 v30, v30, v102
	v_add_f32_e32 v36, v45, v36
	v_mov_b32_e32 v45, v44
	v_fma_f32 v44, v31, s16, -v44
	v_add_f32_e32 v30, v30, v100
	v_fmac_f32_e32 v45, 0xbf3f9e67, v31
	v_add_f32_e32 v37, v44, v37
	v_mul_f32_e32 v44, 0x3f52af12, v32
	v_add_f32_e32 v30, v30, v96
	v_add_f32_e32 v38, v45, v38
	v_mov_b32_e32 v45, v44
	v_fma_f32 v44, v31, s9, -v44
	v_add_f32_e32 v30, v30, v90
	v_fmac_f32_e32 v45, 0x3f116cb1, v31
	v_add_f32_e32 v39, v44, v39
	v_mul_f32_e32 v44, 0xbf6f5d39, v32
	v_add_f32_e32 v30, v30, v29
	v_add_f32_e32 v40, v45, v40
	v_mov_b32_e32 v45, v44
	v_fma_f32 v44, v31, s15, -v44
	v_mul_f32_e32 v32, 0x3f7e222b, v32
	v_add_f32_e32 v30, v30, v75
	v_add_f32_e32 v41, v44, v41
	v_mov_b32_e32 v44, v32
	v_add_f32_e32 v30, v30, v94
	v_fmac_f32_e32 v45, 0xbeb58ec6, v31
	v_fmac_f32_e32 v44, 0x3df6dbef, v31
	v_fma_f32 v31, v31, s14, -v32
	v_add_f32_e32 v30, v30, v104
	v_add_f32_e32 v28, v31, v28
	v_lshrrev_b32_e32 v31, 2, v1
	v_add_f32_e32 v30, v30, v108
	v_mul_u32_u24_e32 v31, 52, v31
	v_add_f32_e32 v30, v30, v109
	v_or_b32_e32 v31, v31, v59
	v_add_f32_e32 v30, v30, v110
	v_lshl_add_u32 v112, v31, 2, 0
	v_add_f32_e32 v42, v45, v42
	v_add_f32_e32 v43, v44, v43
	ds_write2_b32 v112, v30, v34 offset1:4
	ds_write2_b32 v112, v36, v38 offset0:8 offset1:12
	ds_write2_b32 v112, v40, v42 offset0:16 offset1:20
	;; [unrolled: 1-line block ×5, first 2 shown]
	ds_write_b32 v112, v33 offset:192
	v_lshrrev_b32_e32 v28, 2, v12
	s_and_saveexec_b64 s[6:7], s[0:1]
	s_cbranch_execz .LBB0_19
; %bb.18:
	v_sub_f32_e32 v31, v73, v99
	v_add_f32_e32 v30, v71, v98
	v_mul_f32_e32 v32, 0xbe750f2a, v31
	v_sub_f32_e32 v35, v69, v93
	v_fma_f32 v33, v30, s17, -v32
	v_add_f32_e32 v34, v68, v92
	v_mul_f32_e32 v36, 0x3eedf032, v35
	v_add_f32_e32 v33, v89, v33
	v_fma_f32 v37, v34, s8, -v36
	v_sub_f32_e32 v38, v64, v72
	v_add_f32_e32 v33, v37, v33
	v_add_f32_e32 v37, v63, v70
	v_mul_f32_e32 v39, 0xbf29c268, v38
	v_fma_f32 v40, v37, s16, -v39
	v_sub_f32_e32 v41, v60, v67
	v_fmac_f32_e32 v32, 0xbf788fa5, v30
	v_add_f32_e32 v33, v40, v33
	v_add_f32_e32 v40, v57, v65
	v_mul_f32_e32 v42, 0x3f52af12, v41
	v_add_f32_e32 v32, v89, v32
	v_fmac_f32_e32 v36, 0x3f62ad3f, v34
	v_fma_f32 v43, v40, s9, -v42
	v_sub_f32_e32 v44, v58, v62
	v_add_f32_e32 v32, v36, v32
	v_fmac_f32_e32 v39, 0xbf3f9e67, v37
	v_add_f32_e32 v33, v43, v33
	v_add_f32_e32 v43, v53, v61
	v_mul_f32_e32 v45, 0xbf6f5d39, v44
	v_add_f32_e32 v32, v39, v32
	v_fmac_f32_e32 v42, 0x3f116cb1, v40
	v_mul_f32_e32 v36, 0xbf29c268, v31
	v_fma_f32 v46, v43, s15, -v45
	v_sub_f32_e32 v47, v54, v56
	v_add_f32_e32 v32, v42, v32
	v_fmac_f32_e32 v45, 0xbeb58ec6, v43
	v_fma_f32 v39, v30, s16, -v36
	v_mul_f32_e32 v42, 0x3f7e222b, v35
	v_add_f32_e32 v33, v46, v33
	v_add_f32_e32 v46, v27, v55
	v_mul_f32_e32 v48, 0x3f7e222b, v47
	v_add_f32_e32 v32, v45, v32
	v_add_f32_e32 v39, v89, v39
	v_fma_f32 v45, v34, s14, -v42
	v_fma_f32 v49, v46, s14, -v48
	v_fmac_f32_e32 v48, 0x3df6dbef, v46
	v_add_f32_e32 v39, v45, v39
	v_mul_f32_e32 v45, 0xbf52af12, v38
	v_add_f32_e32 v32, v48, v32
	v_fma_f32 v48, v37, s9, -v45
	v_fmac_f32_e32 v36, 0xbf3f9e67, v30
	v_add_f32_e32 v39, v48, v39
	v_mul_f32_e32 v48, 0x3e750f2a, v41
	v_add_f32_e32 v36, v89, v36
	v_fmac_f32_e32 v42, 0x3df6dbef, v34
	v_add_f32_e32 v33, v49, v33
	v_fma_f32 v49, v40, s17, -v48
	v_add_f32_e32 v36, v42, v36
	v_fmac_f32_e32 v45, 0x3f116cb1, v37
	v_add_f32_e32 v39, v49, v39
	v_mul_f32_e32 v49, 0x3eedf032, v44
	v_add_f32_e32 v36, v45, v36
	v_fmac_f32_e32 v48, 0xbf788fa5, v40
	v_mul_f32_e32 v42, 0xbf6f5d39, v31
	v_fma_f32 v113, v43, s8, -v49
	v_add_f32_e32 v36, v48, v36
	v_fmac_f32_e32 v49, 0x3f62ad3f, v43
	v_fma_f32 v45, v30, s15, -v42
	v_mul_f32_e32 v48, 0x3f29c268, v35
	v_add_f32_e32 v39, v113, v39
	v_mul_f32_e32 v113, 0xbf6f5d39, v47
	v_add_f32_e32 v36, v49, v36
	v_add_f32_e32 v45, v89, v45
	v_fma_f32 v49, v34, s16, -v48
	v_fma_f32 v114, v46, s15, -v113
	v_fmac_f32_e32 v113, 0xbeb58ec6, v46
	v_add_f32_e32 v45, v49, v45
	v_mul_f32_e32 v49, 0x3eedf032, v38
	v_add_f32_e32 v36, v113, v36
	v_fma_f32 v113, v37, s8, -v49
	v_fmac_f32_e32 v42, 0xbeb58ec6, v30
	v_add_f32_e32 v45, v113, v45
	v_mul_f32_e32 v113, 0xbf7e222b, v41
	v_add_f32_e32 v42, v89, v42
	v_fmac_f32_e32 v48, 0xbf3f9e67, v34
	v_add_f32_e32 v39, v114, v39
	v_fma_f32 v114, v40, s14, -v113
	v_add_f32_e32 v42, v48, v42
	v_fmac_f32_e32 v49, 0x3f62ad3f, v37
	v_add_f32_e32 v45, v114, v45
	v_mul_f32_e32 v114, 0x3e750f2a, v44
	v_add_f32_e32 v42, v49, v42
	v_fmac_f32_e32 v113, 0x3df6dbef, v40
	v_mul_f32_e32 v48, 0xbf7e222b, v31
	v_fma_f32 v115, v43, s17, -v114
	v_add_f32_e32 v42, v113, v42
	v_fmac_f32_e32 v114, 0xbf788fa5, v43
	v_fma_f32 v49, v30, s14, -v48
	v_mul_f32_e32 v113, 0xbe750f2a, v35
	;; [unrolled: 30-line block ×3, first 2 shown]
	v_fmac_f32_e32 v113, 0x3f116cb1, v30
	v_add_f32_e32 v48, v116, v48
	v_fma_f32 v116, v34, s15, -v115
	v_add_f32_e32 v113, v89, v113
	v_fmac_f32_e32 v115, 0xbeb58ec6, v34
	v_mul_f32_e32 v31, 0xbeedf032, v31
	v_add_f32_e32 v113, v115, v113
	v_fma_f32 v115, v30, s8, -v31
	v_fmac_f32_e32 v31, 0x3f62ad3f, v30
	v_add_f32_e32 v30, v89, v31
	v_add_f32_e32 v31, v89, v71
	;; [unrolled: 1-line block ×4, first 2 shown]
	v_mul_f32_e32 v117, 0xbf29c268, v47
	v_add_f32_e32 v114, v89, v114
	v_add_f32_e32 v31, v31, v63
	v_fma_f32 v118, v46, s16, -v117
	v_fmac_f32_e32 v117, 0xbf3f9e67, v46
	v_add_f32_e32 v114, v116, v114
	v_mul_f32_e32 v116, 0xbe750f2a, v38
	v_add_f32_e32 v31, v31, v57
	v_add_f32_e32 v48, v117, v48
	v_fma_f32 v117, v37, s17, -v116
	v_add_f32_e32 v31, v31, v53
	v_add_f32_e32 v114, v117, v114
	v_mul_f32_e32 v117, 0x3f29c268, v41
	v_fmac_f32_e32 v116, 0xbf788fa5, v37
	v_mul_f32_e32 v35, 0xbf52af12, v35
	v_add_f32_e32 v31, v31, v27
	v_add_f32_e32 v49, v118, v49
	v_fma_f32 v118, v40, s16, -v117
	v_add_f32_e32 v113, v116, v113
	v_add_f32_e32 v115, v89, v115
	v_fma_f32 v116, v34, s9, -v35
	v_mul_f32_e32 v38, 0xbf7e222b, v38
	v_fmac_f32_e32 v35, 0x3f116cb1, v34
	v_add_f32_e32 v31, v31, v55
	v_mul_lo_u32 v34, v28, 52
	v_add_f32_e32 v114, v118, v114
	v_mul_f32_e32 v118, 0x3f7e222b, v44
	v_add_f32_e32 v115, v116, v115
	v_fma_f32 v116, v37, s14, -v38
	v_mul_f32_e32 v41, 0xbf6f5d39, v41
	v_add_f32_e32 v30, v35, v30
	v_fmac_f32_e32 v38, 0x3df6dbef, v37
	v_add_f32_e32 v31, v31, v61
	v_fma_f32 v119, v43, s14, -v118
	v_add_f32_e32 v115, v116, v115
	v_fma_f32 v116, v40, s15, -v41
	v_mul_f32_e32 v44, 0xbf29c268, v44
	v_add_f32_e32 v30, v38, v30
	v_fmac_f32_e32 v41, 0xbeb58ec6, v40
	v_add_f32_e32 v31, v31, v65
	v_add_f32_e32 v114, v119, v114
	v_mul_f32_e32 v119, 0x3eedf032, v47
	v_fmac_f32_e32 v117, 0xbf3f9e67, v40
	v_add_f32_e32 v115, v116, v115
	v_fma_f32 v116, v43, s16, -v44
	v_mul_f32_e32 v47, 0xbe750f2a, v47
	v_add_f32_e32 v30, v41, v30
	v_fmac_f32_e32 v44, 0xbf3f9e67, v43
	v_add_f32_e32 v31, v31, v70
	v_add_f32_e32 v113, v117, v113
	v_fmac_f32_e32 v118, 0x3df6dbef, v43
	v_add_f32_e32 v115, v116, v115
	v_fma_f32 v116, v46, s17, -v47
	v_add_f32_e32 v30, v44, v30
	v_fmac_f32_e32 v47, 0xbf788fa5, v46
	v_add_f32_e32 v31, v31, v92
	v_or_b32_e32 v34, v34, v59
	v_fma_f32 v120, v46, s8, -v119
	v_add_f32_e32 v113, v118, v113
	v_fmac_f32_e32 v119, 0x3f62ad3f, v46
	v_add_f32_e32 v30, v47, v30
	v_add_f32_e32 v31, v31, v98
	v_lshl_add_u32 v34, v34, 2, 0
	v_add_f32_e32 v114, v120, v114
	v_add_f32_e32 v113, v119, v113
	;; [unrolled: 1-line block ×3, first 2 shown]
	ds_write2_b32 v34, v31, v30 offset1:4
	ds_write2_b32 v34, v113, v48 offset0:8 offset1:12
	ds_write2_b32 v34, v42, v36 offset0:16 offset1:20
	ds_write2_b32 v34, v32, v33 offset0:24 offset1:28
	ds_write2_b32 v34, v39, v45 offset0:32 offset1:36
	ds_write2_b32 v34, v49, v114 offset0:40 offset1:44
	ds_write_b32 v34, v115 offset:192
.LBB0_19:
	s_or_b64 exec, exec, s[6:7]
	v_add_f32_e32 v30, v26, v107
	v_add_f32_e32 v30, v30, v103
	;; [unrolled: 1-line block ×13, first 2 shown]
	v_mul_f32_e32 v32, 0x3f62ad3f, v30
	v_mul_f32_e32 v34, 0x3f116cb1, v30
	;; [unrolled: 1-line block ×6, first 2 shown]
	v_sub_f32_e32 v31, v106, v110
	v_mov_b32_e32 v33, v32
	v_mov_b32_e32 v35, v34
	;; [unrolled: 1-line block ×6, first 2 shown]
	v_fmac_f32_e32 v33, 0x3eedf032, v31
	v_fmac_f32_e32 v32, 0xbeedf032, v31
	;; [unrolled: 1-line block ×12, first 2 shown]
	v_add_f32_e32 v33, v26, v33
	v_add_f32_e32 v32, v26, v32
	;; [unrolled: 1-line block ×13, first 2 shown]
	v_sub_f32_e32 v31, v102, v109
	v_mul_f32_e32 v43, 0x3f116cb1, v30
	v_mov_b32_e32 v44, v43
	v_fmac_f32_e32 v43, 0xbf52af12, v31
	v_fmac_f32_e32 v44, 0x3f52af12, v31
	v_add_f32_e32 v32, v43, v32
	v_mul_f32_e32 v43, 0xbeb58ec6, v30
	v_add_f32_e32 v33, v44, v33
	v_mov_b32_e32 v44, v43
	v_fmac_f32_e32 v43, 0xbf6f5d39, v31
	v_fmac_f32_e32 v44, 0x3f6f5d39, v31
	v_add_f32_e32 v34, v43, v34
	v_mul_f32_e32 v43, 0xbf788fa5, v30
	v_add_f32_e32 v35, v44, v35
	v_mov_b32_e32 v44, v43
	v_fmac_f32_e32 v43, 0xbe750f2a, v31
	v_fmac_f32_e32 v44, 0x3e750f2a, v31
	v_add_f32_e32 v36, v43, v36
	v_mul_f32_e32 v43, 0xbf3f9e67, v30
	v_add_f32_e32 v37, v44, v37
	v_mov_b32_e32 v44, v43
	v_fmac_f32_e32 v43, 0x3f29c268, v31
	v_fmac_f32_e32 v44, 0xbf29c268, v31
	v_add_f32_e32 v38, v43, v38
	v_mul_f32_e32 v43, 0x3df6dbef, v30
	v_add_f32_e32 v39, v44, v39
	v_mov_b32_e32 v44, v43
	v_fmac_f32_e32 v43, 0x3f7e222b, v31
	v_mul_f32_e32 v30, 0x3f62ad3f, v30
	v_add_f32_e32 v40, v43, v40
	v_mov_b32_e32 v43, v30
	v_fmac_f32_e32 v30, 0x3eedf032, v31
	v_fmac_f32_e32 v43, 0xbeedf032, v31
	v_add_f32_e32 v26, v30, v26
	v_add_f32_e32 v30, v101, v51
	v_fmac_f32_e32 v44, 0xbf7e222b, v31
	v_add_f32_e32 v42, v43, v42
	v_sub_f32_e32 v31, v100, v108
	v_mul_f32_e32 v43, 0x3df6dbef, v30
	v_add_f32_e32 v41, v44, v41
	v_mov_b32_e32 v44, v43
	v_fmac_f32_e32 v43, 0xbf7e222b, v31
	v_fmac_f32_e32 v44, 0x3f7e222b, v31
	v_add_f32_e32 v32, v43, v32
	v_mul_f32_e32 v43, 0xbf788fa5, v30
	v_add_f32_e32 v33, v44, v33
	v_mov_b32_e32 v44, v43
	v_fmac_f32_e32 v43, 0xbe750f2a, v31
	v_fmac_f32_e32 v44, 0x3e750f2a, v31
	v_add_f32_e32 v34, v43, v34
	v_mul_f32_e32 v43, 0xbeb58ec6, v30
	v_add_f32_e32 v35, v44, v35
	v_mov_b32_e32 v44, v43
	v_fmac_f32_e32 v43, 0x3f6f5d39, v31
	v_fmac_f32_e32 v44, 0xbf6f5d39, v31
	v_add_f32_e32 v36, v43, v36
	v_mul_f32_e32 v43, 0x3f62ad3f, v30
	v_add_f32_e32 v37, v44, v37
	v_mov_b32_e32 v44, v43
	v_fmac_f32_e32 v43, 0x3eedf032, v31
	v_fmac_f32_e32 v44, 0xbeedf032, v31
	v_add_f32_e32 v38, v43, v38
	v_mul_f32_e32 v43, 0x3f116cb1, v30
	v_add_f32_e32 v39, v44, v39
	v_mov_b32_e32 v44, v43
	v_fmac_f32_e32 v43, 0xbf52af12, v31
	v_mul_f32_e32 v30, 0xbf3f9e67, v30
	v_add_f32_e32 v40, v43, v40
	v_mov_b32_e32 v43, v30
	v_fmac_f32_e32 v30, 0xbf29c268, v31
	v_fmac_f32_e32 v43, 0x3f29c268, v31
	v_add_f32_e32 v26, v30, v26
	v_add_f32_e32 v30, v97, v105
	v_fmac_f32_e32 v44, 0x3f52af12, v31
	v_add_f32_e32 v42, v43, v42
	v_sub_f32_e32 v31, v96, v104
	v_mul_f32_e32 v43, 0xbeb58ec6, v30
	v_add_f32_e32 v41, v44, v41
	;; [unrolled: 38-line block ×3, first 2 shown]
	v_mov_b32_e32 v44, v43
	v_fmac_f32_e32 v43, 0xbf29c268, v31
	v_fmac_f32_e32 v44, 0x3f29c268, v31
	v_add_f32_e32 v32, v43, v32
	v_mul_f32_e32 v43, 0x3df6dbef, v30
	v_add_f32_e32 v33, v44, v33
	v_mov_b32_e32 v44, v43
	v_fmac_f32_e32 v43, 0x3f7e222b, v31
	v_fmac_f32_e32 v44, 0xbf7e222b, v31
	v_add_f32_e32 v34, v43, v34
	v_mul_f32_e32 v43, 0x3f116cb1, v30
	v_add_f32_e32 v35, v44, v35
	;; [unrolled: 6-line block ×4, first 2 shown]
	v_mov_b32_e32 v44, v43
	v_fmac_f32_e32 v43, 0x3eedf032, v31
	v_mul_f32_e32 v30, 0xbeb58ec6, v30
	v_add_f32_e32 v40, v43, v40
	v_mov_b32_e32 v43, v30
	v_fmac_f32_e32 v30, 0xbf6f5d39, v31
	v_add_f32_e32 v26, v30, v26
	v_add_f32_e32 v30, v74, v76
	v_fmac_f32_e32 v44, 0xbeedf032, v31
	v_fmac_f32_e32 v43, 0x3f6f5d39, v31
	v_sub_f32_e32 v29, v29, v75
	v_mul_f32_e32 v31, 0xbf788fa5, v30
	v_add_f32_e32 v42, v43, v42
	v_mov_b32_e32 v43, v31
	v_fmac_f32_e32 v31, 0xbe750f2a, v29
	v_add_f32_e32 v91, v31, v32
	v_mul_f32_e32 v31, 0x3f62ad3f, v30
	v_mov_b32_e32 v32, v31
	v_fmac_f32_e32 v31, 0x3eedf032, v29
	v_fmac_f32_e32 v32, 0xbeedf032, v29
	v_add_f32_e32 v95, v31, v34
	v_mul_f32_e32 v31, 0xbf3f9e67, v30
	v_add_f32_e32 v94, v32, v35
	v_mov_b32_e32 v32, v31
	v_fmac_f32_e32 v31, 0xbf29c268, v29
	v_fmac_f32_e32 v32, 0x3f29c268, v29
	v_add_f32_e32 v97, v31, v36
	v_mul_f32_e32 v31, 0x3f116cb1, v30
	v_add_f32_e32 v96, v32, v37
	;; [unrolled: 6-line block ×3, first 2 shown]
	v_mov_b32_e32 v32, v31
	v_fmac_f32_e32 v31, 0xbf6f5d39, v29
	v_mul_f32_e32 v30, 0x3df6dbef, v30
	v_add_f32_e32 v103, v31, v40
	v_mov_b32_e32 v31, v30
	v_add_f32_e32 v41, v44, v41
	v_fmac_f32_e32 v32, 0x3f6f5d39, v29
	v_fmac_f32_e32 v31, 0xbf7e222b, v29
	;; [unrolled: 1-line block ×3, first 2 shown]
	v_add_f32_e32 v102, v32, v41
	v_add_f32_e32 v104, v31, v42
	v_fmac_f32_e32 v30, 0x3f7e222b, v29
	v_add_u32_e32 v41, 0x800, v0
	v_add_u32_e32 v42, 0xa00, v0
	v_add_u32_e32 v51, 0xc00, v0
	v_add_f32_e32 v90, v43, v33
	v_add_f32_e32 v105, v30, v26
	s_waitcnt lgkmcnt(0)
	; wave barrier
	s_waitcnt lgkmcnt(0)
	ds_read2_b32 v[39:40], v41 offset0:112 offset1:164
	ds_read2_b32 v[37:38], v42 offset0:88 offset1:140
	v_add_u32_e32 v43, v2, v88
	v_add_u32_e32 v44, v8, v87
	ds_read2_b32 v[33:34], v51 offset0:64 offset1:116
	v_add_u32_e32 v45, v13, v86
	v_add_u32_e32 v46, v15, v85
	ds_read2_b32 v[29:30], v51 offset0:168 offset1:220
	v_add_u32_e32 v47, v20, v84
	ds_read_b32 v86, v0
	ds_read_b32 v85, v79
	;; [unrolled: 1-line block ×8, first 2 shown]
	v_add_u32_e32 v48, v18, v83
	v_add_u32_e32 v52, 0x1000, v0
	ds_read2_b32 v[35:36], v52 offset0:16 offset1:68
	v_add_u32_e32 v49, v22, v78
	v_add_u32_e32 v8, v81, v77
	ds_read2_b32 v[31:32], v52 offset0:120 offset1:172
	v_add_u32_e32 v50, v82, v50
	ds_read_b32 v74, v48
	ds_read_b32 v22, v49
	;; [unrolled: 1-line block ×4, first 2 shown]
	s_waitcnt lgkmcnt(0)
	; wave barrier
	s_waitcnt lgkmcnt(0)
	ds_write2_b32 v112, v89, v90 offset1:4
	ds_write2_b32 v112, v94, v96 offset0:8 offset1:12
	ds_write2_b32 v112, v100, v102 offset0:16 offset1:20
	;; [unrolled: 1-line block ×5, first 2 shown]
	ds_write_b32 v112, v91 offset:192
	s_and_saveexec_b64 s[6:7], s[0:1]
	s_cbranch_execz .LBB0_21
; %bb.20:
	v_add_f32_e32 v2, v66, v73
	v_add_f32_e32 v73, v73, v99
	v_mul_f32_e32 v77, 0x3f62ad3f, v73
	v_mul_f32_e32 v81, 0x3f116cb1, v73
	;; [unrolled: 1-line block ×6, first 2 shown]
	v_add_f32_e32 v2, v2, v69
	v_sub_f32_e32 v71, v71, v98
	v_mov_b32_e32 v78, v77
	v_mov_b32_e32 v82, v81
	;; [unrolled: 1-line block ×6, first 2 shown]
	v_add_f32_e32 v69, v69, v93
	v_fmac_f32_e32 v78, 0x3eedf032, v71
	v_fmac_f32_e32 v77, 0xbeedf032, v71
	;; [unrolled: 1-line block ×12, first 2 shown]
	v_sub_f32_e32 v68, v68, v92
	v_mul_f32_e32 v71, 0x3f116cb1, v69
	v_add_f32_e32 v78, v66, v78
	v_add_f32_e32 v77, v66, v77
	;; [unrolled: 1-line block ×12, first 2 shown]
	v_mov_b32_e32 v73, v71
	v_fmac_f32_e32 v71, 0xbf52af12, v68
	v_fmac_f32_e32 v73, 0x3f52af12, v68
	v_add_f32_e32 v71, v71, v77
	v_mul_f32_e32 v77, 0xbeb58ec6, v69
	v_add_f32_e32 v73, v73, v78
	v_mov_b32_e32 v78, v77
	v_fmac_f32_e32 v77, 0xbf6f5d39, v68
	v_fmac_f32_e32 v78, 0x3f6f5d39, v68
	v_add_f32_e32 v77, v77, v81
	v_mul_f32_e32 v81, 0xbf788fa5, v69
	v_add_f32_e32 v78, v78, v82
	v_mov_b32_e32 v82, v81
	v_fmac_f32_e32 v81, 0xbe750f2a, v68
	v_add_f32_e32 v2, v2, v64
	v_fmac_f32_e32 v82, 0x3e750f2a, v68
	v_add_f32_e32 v81, v81, v83
	v_mul_f32_e32 v83, 0xbf3f9e67, v69
	v_add_f32_e32 v2, v2, v60
	v_add_f32_e32 v82, v82, v87
	v_mov_b32_e32 v87, v83
	v_fmac_f32_e32 v83, 0x3f29c268, v68
	v_add_f32_e32 v2, v2, v58
	v_fmac_f32_e32 v87, 0xbf29c268, v68
	v_add_f32_e32 v83, v83, v88
	v_mul_f32_e32 v88, 0x3df6dbef, v69
	v_add_f32_e32 v2, v2, v54
	v_add_f32_e32 v87, v87, v89
	v_mov_b32_e32 v89, v88
	v_fmac_f32_e32 v88, 0x3f7e222b, v68
	v_mul_f32_e32 v69, 0x3f62ad3f, v69
	v_add_f32_e32 v2, v2, v56
	v_add_f32_e32 v88, v88, v90
	v_mov_b32_e32 v90, v69
	v_add_f32_e32 v64, v64, v72
	v_add_f32_e32 v2, v2, v62
	v_fmac_f32_e32 v89, 0xbf7e222b, v68
	v_fmac_f32_e32 v90, 0xbeedf032, v68
	;; [unrolled: 1-line block ×3, first 2 shown]
	v_sub_f32_e32 v63, v63, v70
	v_mul_f32_e32 v68, 0x3df6dbef, v64
	v_add_f32_e32 v2, v2, v67
	v_add_f32_e32 v66, v69, v66
	v_mov_b32_e32 v69, v68
	v_fmac_f32_e32 v68, 0xbf7e222b, v63
	v_mul_f32_e32 v70, 0xbf788fa5, v64
	v_add_f32_e32 v2, v2, v72
	v_fmac_f32_e32 v69, 0x3f7e222b, v63
	v_add_f32_e32 v68, v68, v71
	v_mov_b32_e32 v71, v70
	v_fmac_f32_e32 v70, 0xbe750f2a, v63
	v_mul_f32_e32 v72, 0xbeb58ec6, v64
	v_add_f32_e32 v69, v69, v73
	v_fmac_f32_e32 v71, 0x3e750f2a, v63
	;; [unrolled: 6-line block ×3, first 2 shown]
	v_add_f32_e32 v72, v72, v81
	v_mov_b32_e32 v78, v77
	v_fmac_f32_e32 v77, 0x3eedf032, v63
	v_mul_f32_e32 v81, 0x3f116cb1, v64
	v_mul_f32_e32 v64, 0xbf3f9e67, v64
	v_add_f32_e32 v73, v73, v82
	v_add_f32_e32 v77, v77, v83
	v_mov_b32_e32 v82, v81
	v_mov_b32_e32 v83, v64
	v_fmac_f32_e32 v64, 0xbf29c268, v63
	v_add_f32_e32 v60, v60, v67
	v_fmac_f32_e32 v78, 0xbeedf032, v63
	v_fmac_f32_e32 v82, 0x3f52af12, v63
	;; [unrolled: 1-line block ×4, first 2 shown]
	v_add_f32_e32 v63, v64, v66
	v_sub_f32_e32 v57, v57, v65
	v_mul_f32_e32 v64, 0xbeb58ec6, v60
	v_mov_b32_e32 v65, v64
	v_fmac_f32_e32 v64, 0xbf6f5d39, v57
	v_mul_f32_e32 v66, 0xbf3f9e67, v60
	v_fmac_f32_e32 v65, 0x3f6f5d39, v57
	v_add_f32_e32 v64, v64, v68
	v_mov_b32_e32 v67, v66
	v_fmac_f32_e32 v66, 0x3f29c268, v57
	v_mul_f32_e32 v68, 0x3f62ad3f, v60
	v_add_f32_e32 v65, v65, v69
	v_fmac_f32_e32 v67, 0xbf29c268, v57
	v_add_f32_e32 v66, v66, v70
	v_mov_b32_e32 v69, v68
	v_fmac_f32_e32 v68, 0x3eedf032, v57
	v_mul_f32_e32 v70, 0x3df6dbef, v60
	v_add_f32_e32 v67, v67, v71
	v_fmac_f32_e32 v69, 0xbeedf032, v57
	v_add_f32_e32 v68, v68, v72
	v_mov_b32_e32 v71, v70
	v_fmac_f32_e32 v70, 0xbf7e222b, v57
	v_mul_f32_e32 v72, 0xbf788fa5, v60
	v_mul_f32_e32 v60, 0x3f116cb1, v60
	v_add_f32_e32 v69, v69, v73
	v_add_f32_e32 v70, v70, v77
	v_mov_b32_e32 v73, v72
	v_mov_b32_e32 v77, v60
	v_fmac_f32_e32 v60, 0x3f52af12, v57
	v_add_f32_e32 v58, v58, v62
	v_fmac_f32_e32 v71, 0x3f7e222b, v57
	v_fmac_f32_e32 v73, 0xbe750f2a, v57
	v_fmac_f32_e32 v72, 0x3e750f2a, v57
	v_fmac_f32_e32 v77, 0xbf52af12, v57
	v_add_f32_e32 v57, v60, v63
	v_sub_f32_e32 v53, v53, v61
	v_mul_f32_e32 v60, 0xbf3f9e67, v58
	v_mov_b32_e32 v61, v60
	v_fmac_f32_e32 v60, 0xbf29c268, v53
	v_mul_f32_e32 v62, 0x3df6dbef, v58
	v_fmac_f32_e32 v61, 0x3f29c268, v53
	v_add_f32_e32 v60, v60, v64
	v_mov_b32_e32 v63, v62
	v_fmac_f32_e32 v62, 0x3f7e222b, v53
	v_mul_f32_e32 v64, 0x3f116cb1, v58
	v_add_f32_e32 v61, v61, v65
	v_fmac_f32_e32 v63, 0xbf7e222b, v53
	v_add_f32_e32 v62, v62, v66
	v_mov_b32_e32 v65, v64
	v_fmac_f32_e32 v64, 0xbf52af12, v53
	v_mul_f32_e32 v66, 0xbf788fa5, v58
	v_add_f32_e32 v63, v63, v67
	v_fmac_f32_e32 v65, 0x3f52af12, v53
	v_add_f32_e32 v64, v64, v68
	v_mov_b32_e32 v67, v66
	v_fmac_f32_e32 v66, 0x3e750f2a, v53
	v_mul_f32_e32 v68, 0x3f62ad3f, v58
	v_mul_f32_e32 v58, 0xbeb58ec6, v58
	v_add_f32_e32 v54, v54, v56
	v_add_f32_e32 v65, v65, v69
	;; [unrolled: 1-line block ×3, first 2 shown]
	v_mov_b32_e32 v69, v68
	v_mov_b32_e32 v70, v58
	v_fmac_f32_e32 v58, 0xbf6f5d39, v53
	v_sub_f32_e32 v27, v27, v55
	v_mul_f32_e32 v55, 0xbf788fa5, v54
	v_fmac_f32_e32 v67, 0xbe750f2a, v53
	v_fmac_f32_e32 v69, 0xbeedf032, v53
	;; [unrolled: 1-line block ×4, first 2 shown]
	v_add_f32_e32 v53, v58, v57
	v_mov_b32_e32 v56, v55
	v_fmac_f32_e32 v55, 0xbe750f2a, v27
	v_mul_f32_e32 v57, 0x3f62ad3f, v54
	v_mul_lo_u32 v28, v28, 52
	v_fmac_f32_e32 v56, 0x3e750f2a, v27
	v_add_f32_e32 v55, v55, v60
	v_mov_b32_e32 v58, v57
	v_fmac_f32_e32 v57, 0x3eedf032, v27
	v_mul_f32_e32 v60, 0xbf3f9e67, v54
	v_add_f32_e32 v89, v89, v91
	v_add_f32_e32 v90, v90, v94
	;; [unrolled: 1-line block ×3, first 2 shown]
	v_fmac_f32_e32 v58, 0xbeedf032, v27
	v_add_f32_e32 v57, v57, v62
	v_mov_b32_e32 v61, v60
	v_fmac_f32_e32 v60, 0xbf29c268, v27
	v_mul_f32_e32 v62, 0x3f116cb1, v54
	v_add_f32_e32 v78, v78, v87
	v_add_f32_e32 v82, v82, v89
	v_add_f32_e32 v81, v81, v88
	v_add_f32_e32 v83, v83, v90
	v_add_f32_e32 v58, v58, v63
	v_fmac_f32_e32 v61, 0x3f29c268, v27
	v_add_f32_e32 v60, v60, v64
	v_mov_b32_e32 v63, v62
	v_fmac_f32_e32 v62, 0x3f52af12, v27
	v_mul_f32_e32 v64, 0xbeb58ec6, v54
	v_mul_f32_e32 v54, 0x3df6dbef, v54
	v_add_f32_e32 v2, v2, v93
	v_add_f32_e32 v71, v71, v78
	;; [unrolled: 1-line block ×7, first 2 shown]
	v_mov_b32_e32 v65, v64
	v_mov_b32_e32 v66, v54
	v_or_b32_e32 v28, v28, v59
	v_add_f32_e32 v2, v2, v99
	v_add_f32_e32 v67, v67, v71
	;; [unrolled: 1-line block ×5, first 2 shown]
	v_fmac_f32_e32 v63, 0xbf52af12, v27
	v_fmac_f32_e32 v65, 0x3f6f5d39, v27
	;; [unrolled: 1-line block ×5, first 2 shown]
	v_lshl_add_u32 v28, v28, 2, 0
	v_add_f32_e32 v63, v63, v67
	v_add_f32_e32 v65, v65, v69
	;; [unrolled: 1-line block ×5, first 2 shown]
	ds_write2_b32 v28, v2, v56 offset1:4
	ds_write2_b32 v28, v58, v61 offset0:8 offset1:12
	ds_write2_b32 v28, v63, v65 offset0:16 offset1:20
	;; [unrolled: 1-line block ×5, first 2 shown]
	ds_write_b32 v28, v55 offset:192
.LBB0_21:
	s_or_b64 exec, exec, s[6:7]
	v_mov_b32_e32 v2, 0
	v_lshlrev_b64 v[27:28], 3, v[1:2]
	v_mov_b32_e32 v53, s13
	v_add_co_u32_e64 v27, s[0:1], s12, v27
	v_addc_co_u32_e64 v28, s[0:1], v53, v28, s[0:1]
	s_movk_i32 s0, 0x4f
	v_mul_lo_u16_sdwa v57, v17, s0 dst_sel:DWORD dst_unused:UNUSED_PAD src0_sel:BYTE_0 src1_sel:DWORD
	v_lshrrev_b16_e32 v57, 12, v57
	v_mul_lo_u16_sdwa v56, v14, s0 dst_sel:DWORD dst_unused:UNUSED_PAD src0_sel:BYTE_0 src1_sel:DWORD
	v_mul_lo_u16_e32 v57, 52, v57
	s_movk_i32 s0, 0x4ec5
	v_lshrrev_b16_e32 v56, 12, v56
	v_sub_u16_e32 v57, v17, v57
	v_mul_u32_u24_sdwa v96, v19, s0 dst_sel:DWORD dst_unused:UNUSED_PAD src0_sel:WORD_0 src1_sel:DWORD
	v_mul_u32_u24_sdwa v98, v21, s0 dst_sel:DWORD dst_unused:UNUSED_PAD src0_sel:WORD_0 src1_sel:DWORD
	v_mul_lo_u16_e32 v56, 52, v56
	v_and_b32_e32 v95, 0xff, v57
	v_lshrrev_b32_e32 v57, 20, v96
	v_lshrrev_b32_e32 v60, 20, v98
	v_sub_u16_e32 v56, v14, v56
	v_mul_lo_u16_e32 v59, 52, v57
	v_mul_lo_u16_e32 v60, 52, v60
	v_and_b32_e32 v83, 0xff, v56
	v_sub_u16_e32 v97, v19, v59
	v_sub_u16_e32 v99, v21, v60
	v_lshlrev_b32_e32 v56, 3, v83
	v_lshlrev_b32_e32 v58, 3, v95
	;; [unrolled: 1-line block ×4, first 2 shown]
	v_mul_u32_u24_sdwa v102, v9, s0 dst_sel:DWORD dst_unused:UNUSED_PAD src0_sel:WORD_0 src1_sel:DWORD
	s_waitcnt lgkmcnt(0)
	; wave barrier
	s_waitcnt lgkmcnt(0)
	global_load_dwordx2 v[54:55], v[27:28], off offset:400
	v_mul_u32_u24_sdwa v100, v7, s0 dst_sel:DWORD dst_unused:UNUSED_PAD src0_sel:WORD_0 src1_sel:DWORD
	global_load_dwordx2 v[58:59], v58, s[12:13] offset:400
	v_mul_u32_u24_sdwa v67, v11, s0 dst_sel:DWORD dst_unused:UNUSED_PAD src0_sel:WORD_0 src1_sel:DWORD
	global_load_dwordx2 v[56:57], v56, s[12:13] offset:400
	s_nop 0
	global_load_dwordx2 v[60:61], v64, s[12:13] offset:400
	global_load_dwordx2 v[62:63], v65, s[12:13] offset:400
	v_lshrrev_b32_e32 v65, 20, v102
	v_mul_lo_u16_e32 v65, 52, v65
	v_sub_u16_e32 v103, v9, v65
	v_mul_u32_u24_sdwa v65, v10, s0 dst_sel:DWORD dst_unused:UNUSED_PAD src0_sel:WORD_0 src1_sel:DWORD
	v_lshrrev_b32_e32 v64, 20, v100
	v_lshrrev_b32_e32 v65, 20, v65
	v_mul_lo_u16_e32 v64, 52, v64
	v_mul_lo_u16_e32 v65, 52, v65
	v_lshrrev_b32_e32 v67, 20, v67
	v_sub_u16_e32 v101, v7, v64
	v_sub_u16_e32 v104, v10, v65
	v_mul_lo_u16_e32 v68, 52, v67
	v_lshlrev_b32_e32 v64, 3, v101
	v_lshlrev_b32_e32 v66, 3, v103
	;; [unrolled: 1-line block ×3, first 2 shown]
	v_sub_u16_e32 v105, v11, v68
	global_load_dwordx2 v[64:65], v64, s[12:13] offset:400
	v_lshlrev_b32_e32 v73, 3, v105
	global_load_dwordx2 v[66:67], v66, s[12:13] offset:400
	s_nop 0
	global_load_dwordx2 v[68:69], v72, s[12:13] offset:400
	global_load_dwordx2 v[70:71], v73, s[12:13] offset:400
	v_mul_u32_u24_sdwa v72, v16, s0 dst_sel:DWORD dst_unused:UNUSED_PAD src0_sel:WORD_0 src1_sel:DWORD
	v_lshrrev_b32_e32 v72, 20, v72
	v_mul_lo_u16_e32 v72, 52, v72
	v_mul_u32_u24_sdwa v73, v23, s0 dst_sel:DWORD dst_unused:UNUSED_PAD src0_sel:WORD_0 src1_sel:DWORD
	v_sub_u16_e32 v106, v16, v72
	v_lshrrev_b32_e32 v77, 20, v73
	v_lshlrev_b32_e32 v72, 3, v106
	v_mul_lo_u16_e32 v77, 52, v77
	global_load_dwordx2 v[72:73], v72, s[12:13] offset:400
	v_sub_u16_e32 v107, v23, v77
	v_lshlrev_b32_e32 v77, 3, v107
	global_load_dwordx2 v[77:78], v77, s[12:13] offset:400
	ds_read2_b32 v[81:82], v41 offset0:112 offset1:164
	ds_read_b32 v108, v0
	ds_read_b32 v109, v79
	;; [unrolled: 1-line block ×3, first 2 shown]
	ds_read2_b32 v[87:88], v42 offset0:88 offset1:140
	ds_read2_b32 v[89:90], v51 offset0:64 offset1:116
	;; [unrolled: 1-line block ×4, first 2 shown]
	s_waitcnt vmcnt(10) lgkmcnt(7)
	v_mul_f32_e32 v111, v81, v55
	v_mul_f32_e32 v112, v39, v55
	v_fmac_f32_e32 v111, v39, v54
	v_fma_f32 v39, v81, v54, -v112
	v_mul_f32_e32 v81, v82, v55
	v_fmac_f32_e32 v81, v40, v54
	v_mul_f32_e32 v40, v40, v55
	v_fma_f32 v40, v82, v54, -v40
	s_waitcnt vmcnt(8) lgkmcnt(3)
	v_mul_f32_e32 v54, v87, v57
	v_mul_f32_e32 v55, v88, v59
	s_waitcnt vmcnt(7) lgkmcnt(2)
	v_mul_f32_e32 v113, v89, v61
	v_fmac_f32_e32 v54, v37, v56
	v_mul_f32_e32 v37, v37, v57
	v_fmac_f32_e32 v55, v38, v58
	;; [unrolled: 2-line block ×3, first 2 shown]
	v_mul_f32_e32 v33, v33, v61
	s_waitcnt vmcnt(6)
	v_mul_f32_e32 v61, v90, v63
	v_fma_f32 v37, v87, v56, -v37
	v_fma_f32 v38, v88, v58, -v38
	ds_read_b32 v56, v43
	ds_read_b32 v57, v44
	;; [unrolled: 1-line block ×8, first 2 shown]
	v_fma_f32 v60, v89, v60, -v33
	v_fmac_f32_e32 v61, v34, v62
	v_mul_f32_e32 v63, v34, v63
	ds_read2_b32 v[33:34], v52 offset0:120 offset1:172
	s_waitcnt vmcnt(5) lgkmcnt(10)
	v_mul_f32_e32 v89, v91, v65
	v_fmac_f32_e32 v89, v29, v64
	v_mul_f32_e32 v29, v29, v65
	v_fma_f32 v29, v91, v64, -v29
	s_waitcnt vmcnt(4)
	v_mul_f32_e32 v64, v92, v67
	v_fmac_f32_e32 v64, v30, v66
	v_mul_f32_e32 v30, v30, v67
	s_waitcnt vmcnt(3) lgkmcnt(9)
	v_mul_f32_e32 v65, v93, v69
	v_fma_f32 v30, v92, v66, -v30
	s_waitcnt vmcnt(1) lgkmcnt(0)
	v_mul_f32_e32 v67, v33, v73
	v_fmac_f32_e32 v67, v31, v72
	v_mul_f32_e32 v31, v31, v73
	v_fma_f32 v31, v33, v72, -v31
	s_waitcnt vmcnt(0)
	v_mul_f32_e32 v33, v34, v78
	v_fmac_f32_e32 v33, v32, v77
	v_mul_f32_e32 v32, v32, v78
	v_fmac_f32_e32 v65, v35, v68
	v_mul_f32_e32 v35, v35, v69
	v_mul_f32_e32 v66, v94, v71
	v_fma_f32 v32, v34, v77, -v32
	v_sub_f32_e32 v34, v86, v111
	v_fma_f32 v35, v93, v68, -v35
	v_fmac_f32_e32 v66, v36, v70
	v_mul_f32_e32 v36, v36, v71
	v_fma_f32 v68, v86, 2.0, -v34
	v_sub_f32_e32 v69, v85, v81
	v_fma_f32 v62, v90, v62, -v63
	ds_read_b32 v63, v50
	v_fma_f32 v36, v94, v70, -v36
	v_fma_f32 v70, v85, 2.0, -v69
	v_sub_f32_e32 v61, v26, v61
	s_waitcnt lgkmcnt(0)
	; wave barrier
	s_waitcnt lgkmcnt(0)
	ds_write2_b32 v0, v68, v34 offset1:52
	ds_write2_b32 v0, v70, v69 offset0:104 offset1:156
	v_lshl_add_u32 v68, v99, 2, 0
	v_sub_f32_e32 v55, v76, v55
	v_fma_f32 v26, v26, 2.0, -v61
	v_lshl_add_u32 v34, v83, 2, 0
	v_add_u32_e32 v83, 0x800, v68
	v_sub_f32_e32 v54, v84, v54
	v_fma_f32 v72, v76, 2.0, -v55
	v_sub_f32_e32 v76, v20, v89
	v_sub_f32_e32 v66, v22, v66
	ds_write2_b32 v83, v26, v61 offset0:8 offset1:60
	v_lshl_add_u32 v26, v101, 2, 0
	v_lshl_add_u32 v61, v105, 2, 0
	v_fma_f32 v71, v84, 2.0, -v54
	v_fma_f32 v20, v20, 2.0, -v76
	;; [unrolled: 1-line block ×3, first 2 shown]
	v_add_u32_e32 v34, 0x200, v34
	v_add_u32_e32 v26, 0x800, v26
	;; [unrolled: 1-line block ×3, first 2 shown]
	v_sub_f32_e32 v64, v15, v64
	v_sub_f32_e32 v67, v18, v67
	ds_write2_b32 v34, v71, v54 offset0:80 offset1:132
	v_lshl_add_u32 v54, v95, 2, 0
	ds_write2_b32 v26, v20, v76 offset0:112 offset1:164
	v_lshl_add_u32 v20, v103, 2, 0
	;; [unrolled: 2-line block ×3, first 2 shown]
	v_fma_f32 v15, v15, 2.0, -v64
	v_fma_f32 v18, v18, 2.0, -v67
	v_add_u32_e32 v54, 0x400, v54
	v_add_u32_e32 v20, 0xa00, v20
	;; [unrolled: 1-line block ×3, first 2 shown]
	v_sub_f32_e32 v39, v108, v39
	v_sub_f32_e32 v73, v75, v113
	;; [unrolled: 1-line block ×4, first 2 shown]
	ds_write2_b32 v54, v72, v55 offset0:56 offset1:108
	v_lshl_add_u32 v55, v97, 2, 0
	ds_write2_b32 v20, v15, v64 offset0:88 offset1:140
	v_lshl_add_u32 v15, v104, 2, 0
	;; [unrolled: 2-line block ×3, first 2 shown]
	v_fma_f32 v78, v108, 2.0, -v39
	v_sub_f32_e32 v40, v109, v40
	v_sub_f32_e32 v37, v110, v37
	;; [unrolled: 1-line block ×4, first 2 shown]
	v_fma_f32 v75, v75, 2.0, -v73
	v_sub_f32_e32 v62, v58, v62
	v_sub_f32_e32 v29, v59, v29
	;; [unrolled: 1-line block ×4, first 2 shown]
	v_fma_f32 v74, v74, 2.0, -v65
	v_sub_f32_e32 v36, v88, v36
	v_sub_f32_e32 v31, v112, v31
	;; [unrolled: 1-line block ×3, first 2 shown]
	v_fma_f32 v13, v13, 2.0, -v33
	v_add_u32_e32 v55, 0x400, v55
	v_add_u32_e32 v15, 0xc00, v15
	;; [unrolled: 1-line block ×5, first 2 shown]
	v_fma_f32 v85, v109, 2.0, -v40
	v_fma_f32 v84, v110, 2.0, -v37
	;; [unrolled: 1-line block ×11, first 2 shown]
	ds_write2_b32 v55, v75, v73 offset0:160 offset1:212
	ds_write2_b32 v15, v74, v65 offset0:64 offset1:116
	;; [unrolled: 1-line block ×3, first 2 shown]
	s_waitcnt lgkmcnt(0)
	; wave barrier
	s_waitcnt lgkmcnt(0)
	ds_read_b32 v13, v0
	ds_read2_b32 v[66:67], v51 offset0:12 offset1:64
	ds_read2_b32 v[68:69], v90 offset0:84 offset1:136
	;; [unrolled: 1-line block ×7, first 2 shown]
	ds_read_b32 v95, v43
	ds_read_b32 v97, v44
	;; [unrolled: 1-line block ×8, first 2 shown]
	ds_read_b32 v107, v0 offset:4784
	s_waitcnt lgkmcnt(0)
	; wave barrier
	s_waitcnt lgkmcnt(0)
	ds_write2_b32 v0, v78, v39 offset1:52
	ds_write2_b32 v0, v85, v40 offset0:104 offset1:156
	ds_write2_b32 v34, v84, v37 offset0:80 offset1:132
	;; [unrolled: 1-line block ×11, first 2 shown]
	v_mov_b32_e32 v26, v2
	v_lshlrev_b64 v[25:26], 3, v[25:26]
	s_waitcnt lgkmcnt(0)
	v_add_co_u32_e64 v25, s[0:1], s12, v25
	v_addc_co_u32_e64 v26, s[0:1], v53, v26, s[0:1]
	; wave barrier
	global_load_dwordx4 v[29:32], v[25:26], off offset:816
	v_mov_b32_e32 v25, v2
	v_lshlrev_b64 v[24:25], 3, v[24:25]
	v_lshrrev_b32_e32 v15, 21, v96
	v_add_co_u32_e64 v24, s[0:1], s12, v24
	v_mul_lo_u16_e32 v15, 0x68, v15
	v_addc_co_u32_e64 v25, s[0:1], v53, v25, s[0:1]
	v_sub_u16_e32 v15, v19, v15
	global_load_dwordx4 v[33:36], v[24:25], off offset:816
	v_lshlrev_b32_e32 v18, 4, v15
	global_load_dwordx4 v[37:40], v18, s[12:13] offset:816
	v_lshrrev_b32_e32 v18, 21, v98
	v_mul_lo_u16_e32 v18, 0x68, v18
	v_sub_u16_e32 v18, v21, v18
	v_lshlrev_b32_e32 v20, 4, v18
	global_load_dwordx4 v[54:57], v20, s[12:13] offset:816
	v_lshrrev_b32_e32 v20, 21, v100
	v_mul_lo_u16_e32 v20, 0x68, v20
	v_sub_u16_e32 v20, v7, v20
	;; [unrolled: 5-line block ×3, first 2 shown]
	v_lshlrev_b32_e32 v24, 4, v22
	global_load_dwordx4 v[62:65], v24, s[12:13] offset:816
	ds_read_b32 v26, v0
	ds_read2_b32 v[24:25], v51 offset0:12 offset1:64
	ds_read2_b32 v[83:84], v90 offset0:84 offset1:136
	;; [unrolled: 1-line block ×7, first 2 shown]
	ds_read_b32 v78, v43
	ds_read_b32 v96, v44
	;; [unrolled: 1-line block ×8, first 2 shown]
	ds_read_b32 v111, v0 offset:4784
	v_lshl_add_u32 v15, v15, 2, 0
	s_waitcnt lgkmcnt(0)
	; wave barrier
	s_waitcnt lgkmcnt(0)
	v_lshl_add_u32 v18, v18, 2, 0
	v_lshl_add_u32 v20, v20, 2, 0
	;; [unrolled: 1-line block ×3, first 2 shown]
	s_waitcnt vmcnt(5)
	v_mul_f32_e32 v112, v102, v30
	v_fmac_f32_e32 v112, v103, v29
	v_mul_f32_e32 v103, v103, v30
	v_fma_f32 v102, v102, v29, -v103
	v_mul_f32_e32 v103, v25, v32
	v_fmac_f32_e32 v103, v67, v31
	v_mul_f32_e32 v67, v67, v32
	v_fma_f32 v25, v25, v31, -v67
	s_waitcnt vmcnt(4)
	v_mul_f32_e32 v67, v83, v34
	v_fmac_f32_e32 v67, v68, v33
	v_mul_f32_e32 v68, v68, v34
	v_fma_f32 v68, v83, v33, -v68
	v_mul_f32_e32 v83, v84, v30
	v_fmac_f32_e32 v83, v69, v29
	v_mul_f32_e32 v30, v69, v30
	v_mul_f32_e32 v69, v85, v36
	v_fmac_f32_e32 v69, v70, v35
	v_fma_f32 v29, v84, v29, -v30
	v_mul_f32_e32 v30, v70, v36
	v_mul_f32_e32 v70, v86, v32
	;; [unrolled: 1-line block ×3, first 2 shown]
	v_fmac_f32_e32 v70, v71, v31
	v_fma_f32 v31, v86, v31, -v32
	v_mul_f32_e32 v32, v87, v34
	v_mul_f32_e32 v34, v72, v34
	v_fmac_f32_e32 v32, v72, v33
	v_fma_f32 v33, v87, v33, -v34
	v_mul_f32_e32 v34, v89, v36
	v_mul_f32_e32 v36, v74, v36
	v_fma_f32 v30, v85, v35, -v30
	v_fmac_f32_e32 v34, v74, v35
	v_fma_f32 v35, v89, v35, -v36
	s_waitcnt vmcnt(3)
	v_mul_f32_e32 v36, v88, v38
	v_mul_f32_e32 v38, v73, v38
	v_fmac_f32_e32 v36, v73, v37
	v_fma_f32 v37, v88, v37, -v38
	v_mul_f32_e32 v38, v90, v40
	v_mul_f32_e32 v40, v75, v40
	v_fmac_f32_e32 v38, v75, v39
	v_fma_f32 v39, v90, v39, -v40
	s_waitcnt vmcnt(2)
	v_mul_f32_e32 v40, v91, v55
	v_mul_f32_e32 v55, v76, v55
	v_fmac_f32_e32 v40, v76, v54
	v_fma_f32 v54, v91, v54, -v55
	v_mul_f32_e32 v55, v93, v57
	v_mul_f32_e32 v57, v81, v57
	;; [unrolled: 9-line block ×4, first 2 shown]
	v_add_f32_e32 v65, v112, v103
	v_fmac_f32_e32 v62, v107, v64
	v_fma_f32 v63, v111, v64, -v63
	v_add_f32_e32 v64, v13, v112
	v_fmac_f32_e32 v13, -0.5, v65
	v_sub_f32_e32 v65, v102, v25
	v_mov_b32_e32 v66, v13
	v_fmac_f32_e32 v66, 0xbf5db3d7, v65
	v_fmac_f32_e32 v13, 0x3f5db3d7, v65
	v_add_f32_e32 v65, v26, v102
	v_add_f32_e32 v65, v65, v25
	;; [unrolled: 1-line block ×3, first 2 shown]
	v_fmac_f32_e32 v26, -0.5, v25
	v_sub_f32_e32 v25, v112, v103
	v_mov_b32_e32 v71, v26
	v_add_f32_e32 v72, v67, v69
	v_fmac_f32_e32 v71, 0x3f5db3d7, v25
	v_fmac_f32_e32 v26, 0xbf5db3d7, v25
	v_add_f32_e32 v25, v106, v67
	v_fmac_f32_e32 v106, -0.5, v72
	v_sub_f32_e32 v72, v68, v30
	v_mov_b32_e32 v73, v106
	v_fmac_f32_e32 v73, 0xbf5db3d7, v72
	v_fmac_f32_e32 v106, 0x3f5db3d7, v72
	v_add_f32_e32 v72, v110, v68
	v_add_f32_e32 v72, v72, v30
	;; [unrolled: 1-line block ×3, first 2 shown]
	v_fmac_f32_e32 v110, -0.5, v30
	v_sub_f32_e32 v30, v67, v69
	v_mov_b32_e32 v67, v110
	v_add_f32_e32 v68, v83, v70
	v_fmac_f32_e32 v67, 0x3f5db3d7, v30
	v_fmac_f32_e32 v110, 0xbf5db3d7, v30
	v_add_f32_e32 v30, v105, v83
	v_fmac_f32_e32 v105, -0.5, v68
	v_add_f32_e32 v25, v25, v69
	v_sub_f32_e32 v68, v29, v31
	v_mov_b32_e32 v69, v105
	v_fmac_f32_e32 v69, 0xbf5db3d7, v68
	v_fmac_f32_e32 v105, 0x3f5db3d7, v68
	v_add_f32_e32 v68, v109, v29
	v_add_f32_e32 v29, v29, v31
	v_fmac_f32_e32 v109, -0.5, v29
	v_add_f32_e32 v30, v30, v70
	v_add_f32_e32 v68, v68, v31
	v_sub_f32_e32 v29, v83, v70
	v_mov_b32_e32 v31, v109
	v_add_f32_e32 v70, v32, v34
	v_fmac_f32_e32 v31, 0x3f5db3d7, v29
	v_fmac_f32_e32 v109, 0xbf5db3d7, v29
	v_add_f32_e32 v29, v95, v32
	v_fmac_f32_e32 v95, -0.5, v70
	v_sub_f32_e32 v70, v33, v35
	v_mov_b32_e32 v74, v95
	v_fmac_f32_e32 v74, 0xbf5db3d7, v70
	v_fmac_f32_e32 v95, 0x3f5db3d7, v70
	v_add_f32_e32 v70, v78, v33
	v_add_f32_e32 v33, v33, v35
	v_fmac_f32_e32 v78, -0.5, v33
	v_add_f32_e32 v29, v29, v34
	v_sub_f32_e32 v32, v32, v34
	v_mov_b32_e32 v33, v78
	v_add_f32_e32 v34, v36, v38
	v_fmac_f32_e32 v33, 0x3f5db3d7, v32
	v_fmac_f32_e32 v78, 0xbf5db3d7, v32
	v_add_f32_e32 v32, v97, v36
	v_fmac_f32_e32 v97, -0.5, v34
	v_add_f32_e32 v70, v70, v35
	v_sub_f32_e32 v34, v37, v39
	v_mov_b32_e32 v35, v97
	v_fmac_f32_e32 v35, 0xbf5db3d7, v34
	v_fmac_f32_e32 v97, 0x3f5db3d7, v34
	v_add_f32_e32 v34, v96, v37
	v_add_f32_e32 v37, v37, v39
	v_fmac_f32_e32 v96, -0.5, v37
	v_sub_f32_e32 v36, v36, v38
	v_mov_b32_e32 v75, v96
	v_add_f32_e32 v37, v40, v55
	v_fmac_f32_e32 v75, 0x3f5db3d7, v36
	v_fmac_f32_e32 v96, 0xbf5db3d7, v36
	v_add_f32_e32 v36, v99, v40
	v_fmac_f32_e32 v99, -0.5, v37
	v_add_f32_e32 v32, v32, v38
	v_sub_f32_e32 v37, v54, v56
	v_mov_b32_e32 v38, v99
	v_fmac_f32_e32 v38, 0xbf5db3d7, v37
	v_fmac_f32_e32 v99, 0x3f5db3d7, v37
	v_add_f32_e32 v37, v98, v54
	v_add_f32_e32 v76, v37, v56
	;; [unrolled: 1-line block ×3, first 2 shown]
	v_fmac_f32_e32 v98, -0.5, v37
	v_add_f32_e32 v34, v34, v39
	v_sub_f32_e32 v37, v40, v55
	v_mov_b32_e32 v77, v98
	v_add_f32_e32 v39, v57, v59
	v_fmac_f32_e32 v77, 0x3f5db3d7, v37
	v_fmac_f32_e32 v98, 0xbf5db3d7, v37
	v_add_f32_e32 v37, v101, v57
	v_fmac_f32_e32 v101, -0.5, v39
	v_sub_f32_e32 v39, v58, v60
	v_mov_b32_e32 v40, v101
	v_fmac_f32_e32 v40, 0xbf5db3d7, v39
	v_fmac_f32_e32 v101, 0x3f5db3d7, v39
	v_add_f32_e32 v39, v100, v58
	v_add_f32_e32 v81, v39, v60
	v_add_f32_e32 v39, v58, v60
	v_fmac_f32_e32 v100, -0.5, v39
	v_sub_f32_e32 v39, v57, v59
	v_mov_b32_e32 v60, v100
	v_add_f32_e32 v54, v61, v62
	v_fmac_f32_e32 v60, 0x3f5db3d7, v39
	v_fmac_f32_e32 v100, 0xbf5db3d7, v39
	v_add_f32_e32 v39, v104, v61
	v_fmac_f32_e32 v104, -0.5, v54
	v_add_f32_e32 v36, v36, v55
	v_sub_f32_e32 v54, v24, v63
	v_mov_b32_e32 v55, v104
	v_fmac_f32_e32 v55, 0xbf5db3d7, v54
	v_fmac_f32_e32 v104, 0x3f5db3d7, v54
	v_add_f32_e32 v54, v108, v24
	v_add_f32_e32 v24, v24, v63
	v_fmac_f32_e32 v108, -0.5, v24
	v_add_f32_e32 v64, v64, v103
	v_sub_f32_e32 v24, v61, v62
	v_mov_b32_e32 v61, v108
	v_fmac_f32_e32 v61, 0x3f5db3d7, v24
	v_fmac_f32_e32 v108, 0xbf5db3d7, v24
	ds_write2_b32 v0, v64, v66 offset1:104
	ds_write_b32 v0, v13 offset:832
	ds_write2_b32 v79, v25, v73 offset1:104
	ds_write_b32 v79, v106 offset:832
	v_add_u32_e32 v13, 0x400, v0
	v_add_u32_e32 v24, 0x400, v79
	;; [unrolled: 1-line block ×3, first 2 shown]
	v_add_f32_e32 v37, v37, v59
	v_add_f32_e32 v39, v39, v62
	ds_write2_b32 v13, v30, v69 offset0:56 offset1:160
	ds_write_b32 v0, v105 offset:2080
	ds_write2_b32 v24, v29, v74 offset0:56 offset1:160
	ds_write_b32 v79, v95 offset:2080
	;; [unrolled: 2-line block ×3, first 2 shown]
	v_add_u32_e32 v29, 0x800, v18
	v_add_u32_e32 v30, 0xe00, v20
	v_add_u32_e32 v32, 0xe00, v22
	v_add_f32_e32 v82, v54, v63
	ds_write2_b32 v29, v36, v38 offset0:112 offset1:216
	ds_write_b32 v18, v99 offset:3328
	ds_write2_b32 v30, v37, v40 offset0:40 offset1:144
	ds_write_b32 v20, v101 offset:4576
	;; [unrolled: 2-line block ×3, first 2 shown]
	s_waitcnt lgkmcnt(0)
	; wave barrier
	s_waitcnt lgkmcnt(0)
	ds_read2_b32 v[35:36], v41 offset0:112 offset1:164
	ds_read2_b32 v[37:38], v42 offset0:88 offset1:140
	;; [unrolled: 1-line block ×4, first 2 shown]
	ds_read_b32 v83, v0
	ds_read_b32 v84, v79
	;; [unrolled: 1-line block ×8, first 2 shown]
	ds_read2_b32 v[56:57], v52 offset0:16 offset1:68
	ds_read2_b32 v[58:59], v52 offset0:120 offset1:172
	ds_read_b32 v91, v48
	ds_read_b32 v92, v49
	;; [unrolled: 1-line block ×4, first 2 shown]
	s_waitcnt lgkmcnt(0)
	; wave barrier
	s_waitcnt lgkmcnt(0)
	ds_write2_b32 v0, v65, v71 offset1:104
	ds_write_b32 v0, v26 offset:832
	ds_write2_b32 v79, v72, v67 offset1:104
	ds_write_b32 v79, v110 offset:832
	ds_write2_b32 v13, v68, v31 offset0:56 offset1:160
	ds_write_b32 v0, v109 offset:2080
	ds_write2_b32 v24, v70, v33 offset0:56 offset1:160
	;; [unrolled: 2-line block ×6, first 2 shown]
	ds_write_b32 v22, v108 offset:4576
	v_mov_b32_e32 v13, v2
	v_lshlrev_b64 v[12:13], 3, v[12:13]
	v_mov_b32_e32 v15, v2
	v_add_co_u32_e64 v25, s[0:1], s12, v12
	v_addc_co_u32_e64 v26, s[0:1], v53, v13, s[0:1]
	v_lshlrev_b64 v[13:14], 3, v[14:15]
	s_waitcnt lgkmcnt(0)
	; wave barrier
	s_waitcnt lgkmcnt(0)
	global_load_dwordx2 v[60:61], v[27:28], off offset:2480
	v_mov_b32_e32 v18, v2
	v_add_co_u32_e64 v13, s[0:1], s12, v13
	v_lshlrev_b64 v[17:18], 3, v[17:18]
	v_addc_co_u32_e64 v14, s[0:1], v53, v14, s[0:1]
	v_add_co_u32_e64 v29, s[0:1], s12, v17
	v_mov_b32_e32 v20, v2
	v_addc_co_u32_e64 v30, s[0:1], v53, v18, s[0:1]
	global_load_dwordx2 v[17:18], v[25:26], off offset:2480
	global_load_dwordx2 v[62:63], v[13:14], off offset:2480
	;; [unrolled: 1-line block ×3, first 2 shown]
	v_lshlrev_b64 v[19:20], 3, v[19:20]
	v_mov_b32_e32 v22, v2
	v_add_co_u32_e64 v31, s[0:1], s12, v19
	v_lshlrev_b64 v[21:22], 3, v[21:22]
	v_addc_co_u32_e64 v32, s[0:1], v53, v20, s[0:1]
	global_load_dwordx2 v[19:20], v[31:32], off offset:2480
	v_add_co_u32_e64 v33, s[0:1], s12, v21
	v_addc_co_u32_e64 v34, s[0:1], v53, v22, s[0:1]
	global_load_dwordx2 v[21:22], v[33:34], off offset:2480
	ds_read2_b32 v[66:67], v41 offset0:112 offset1:164
	ds_read_b32 v12, v0
	ds_read_b32 v15, v79
	;; [unrolled: 1-line block ×3, first 2 shown]
	ds_read2_b32 v[68:69], v42 offset0:88 offset1:140
	ds_read2_b32 v[70:71], v51 offset0:64 offset1:116
	;; [unrolled: 1-line block ×4, first 2 shown]
	ds_read_b32 v53, v43
	ds_read_b32 v78, v44
	;; [unrolled: 1-line block ×8, first 2 shown]
	ds_read2_b32 v[76:77], v52 offset0:120 offset1:172
	ds_read_b32 v99, v50
	s_waitcnt lgkmcnt(0)
	; wave barrier
	s_waitcnt vmcnt(5) lgkmcnt(0)
	v_mul_f32_e32 v100, v66, v61
	v_fmac_f32_e32 v100, v35, v60
	v_mul_f32_e32 v35, v35, v61
	v_fma_f32 v35, v66, v60, -v35
	s_waitcnt vmcnt(4)
	v_mul_f32_e32 v66, v67, v18
	v_fmac_f32_e32 v66, v36, v17
	v_mul_f32_e32 v36, v36, v18
	v_fma_f32 v36, v67, v17, -v36
	s_waitcnt vmcnt(3)
	;; [unrolled: 5-line block ×5, first 2 shown]
	v_mul_f32_e32 v70, v71, v22
	v_fmac_f32_e32 v70, v40, v21
	v_mul_f32_e32 v40, v40, v22
	v_fma_f32 v40, v71, v21, -v40
	v_mul_f32_e32 v71, v72, v61
	v_fmac_f32_e32 v71, v54, v60
	v_mul_f32_e32 v54, v54, v61
	v_fma_f32 v54, v72, v60, -v54
	v_mul_f32_e32 v60, v73, v18
	v_mul_f32_e32 v18, v55, v18
	v_fmac_f32_e32 v60, v55, v17
	v_fma_f32 v17, v73, v17, -v18
	v_mul_f32_e32 v18, v74, v63
	v_mul_f32_e32 v61, v76, v20
	;; [unrolled: 1-line block ×3, first 2 shown]
	v_fmac_f32_e32 v18, v56, v62
	v_mul_f32_e32 v55, v56, v63
	v_mul_f32_e32 v56, v75, v65
	v_fmac_f32_e32 v61, v58, v19
	v_fma_f32 v19, v76, v19, -v20
	v_mul_f32_e32 v20, v77, v22
	v_fmac_f32_e32 v56, v57, v64
	v_mul_f32_e32 v57, v57, v65
	v_fmac_f32_e32 v20, v59, v21
	v_mul_f32_e32 v22, v59, v22
	v_sub_f32_e32 v58, v84, v66
	v_sub_f32_e32 v63, v15, v36
	;; [unrolled: 1-line block ×3, first 2 shown]
	v_fma_f32 v55, v74, v62, -v55
	v_fma_f32 v57, v75, v64, -v57
	;; [unrolled: 1-line block ×3, first 2 shown]
	v_sub_f32_e32 v22, v83, v100
	v_fma_f32 v64, v15, 2.0, -v63
	v_sub_f32_e32 v15, v85, v67
	v_sub_f32_e32 v59, v86, v68
	v_fma_f32 v67, v53, 2.0, -v66
	v_sub_f32_e32 v53, v87, v69
	v_sub_f32_e32 v68, v78, v39
	;; [unrolled: 1-line block ×10, first 2 shown]
	v_fma_f32 v35, v83, 2.0, -v22
	v_fma_f32 v36, v84, 2.0, -v58
	v_sub_f32_e32 v65, v24, v37
	v_fma_f32 v37, v85, 2.0, -v15
	v_fma_f32 v38, v86, 2.0, -v59
	;; [unrolled: 1-line block ×4, first 2 shown]
	v_sub_f32_e32 v72, v81, v40
	v_fma_f32 v40, v88, 2.0, -v70
	v_fma_f32 v54, v89, 2.0, -v71
	;; [unrolled: 1-line block ×3, first 2 shown]
	v_sub_f32_e32 v60, v90, v60
	v_sub_f32_e32 v78, v96, v55
	v_fma_f32 v55, v91, 2.0, -v18
	v_sub_f32_e32 v82, v97, v57
	v_fma_f32 v57, v92, 2.0, -v56
	;; [unrolled: 2-line block ×4, first 2 shown]
	v_fma_f32 v76, v90, 2.0, -v60
	ds_write_b32 v0, v35
	ds_write_b32 v0, v22 offset:1248
	ds_write_b32 v79, v36
	ds_write_b32 v79, v58 offset:1248
	;; [unrolled: 2-line block ×6, first 2 shown]
	ds_write_b32 v0, v54 offset:2496
	ds_write_b32 v0, v71 offset:3744
	;; [unrolled: 1-line block ×12, first 2 shown]
	s_waitcnt lgkmcnt(0)
	; wave barrier
	s_waitcnt lgkmcnt(0)
	ds_read2_b32 v[18:19], v41 offset0:112 offset1:164
	ds_read2_b32 v[20:21], v42 offset0:88 offset1:140
	;; [unrolled: 1-line block ×4, first 2 shown]
	ds_read_b32 v22, v0
	ds_read_b32 v51, v79
	;; [unrolled: 1-line block ×8, first 2 shown]
	ds_read2_b32 v[39:40], v52 offset0:16 offset1:68
	ds_read2_b32 v[41:42], v52 offset0:120 offset1:172
	ds_read_b32 v52, v48
	ds_read_b32 v15, v49
	;; [unrolled: 1-line block ×4, first 2 shown]
	v_fma_f32 v12, v12, 2.0, -v62
	v_sub_f32_e32 v17, v95, v17
	v_fma_f32 v24, v24, 2.0, -v65
	v_fma_f32 v73, v81, 2.0, -v72
	;; [unrolled: 1-line block ×7, first 2 shown]
	s_waitcnt lgkmcnt(0)
	; wave barrier
	s_waitcnt lgkmcnt(0)
	ds_write_b32 v0, v12
	ds_write_b32 v0, v62 offset:1248
	ds_write_b32 v79, v64
	ds_write_b32 v79, v63 offset:1248
	;; [unrolled: 2-line block ×6, first 2 shown]
	ds_write_b32 v0, v75 offset:2496
	ds_write_b32 v0, v74 offset:3744
	;; [unrolled: 1-line block ×12, first 2 shown]
	s_waitcnt lgkmcnt(0)
	; wave barrier
	s_waitcnt lgkmcnt(0)
	s_and_saveexec_b64 s[0:1], vcc
	s_cbranch_execz .LBB0_23
; %bb.22:
	v_mov_b32_e32 v24, v2
	v_lshlrev_b64 v[23:24], 3, v[23:24]
	v_mov_b32_e32 v69, s13
	v_add_co_u32_e32 v12, vcc, s12, v23
	v_addc_co_u32_e32 v17, vcc, v69, v24, vcc
	v_add_co_u32_e32 v23, vcc, 0x1000, v12
	v_addc_co_u32_e32 v24, vcc, 0, v17, vcc
	global_load_dwordx2 v[23:24], v[23:24], off offset:880
	v_mov_b32_e32 v17, v2
	v_lshlrev_b64 v[16:17], 3, v[16:17]
	s_movk_i32 s0, 0x1000
	v_add_co_u32_e32 v12, vcc, s12, v16
	v_addc_co_u32_e32 v17, vcc, v69, v17, vcc
	v_add_co_u32_e32 v16, vcc, s0, v12
	v_addc_co_u32_e32 v17, vcc, 0, v17, vcc
	global_load_dwordx2 v[16:17], v[16:17], off offset:880
	v_mov_b32_e32 v12, v2
	v_lshlrev_b64 v[11:12], 3, v[11:12]
	v_mul_lo_u32 v71, s5, v5
	v_add_co_u32_e32 v11, vcc, s12, v11
	v_addc_co_u32_e32 v12, vcc, v69, v12, vcc
	v_add_co_u32_e32 v11, vcc, s0, v11
	v_addc_co_u32_e32 v12, vcc, 0, v12, vcc
	global_load_dwordx2 v[61:62], v[11:12], off offset:880
	v_mov_b32_e32 v11, v2
	v_mul_lo_u32 v12, s4, v6
	v_mad_u64_u32 v[63:64], s[4:5], s4, v5, 0
	v_lshlrev_b64 v[5:6], 3, v[10:11]
	v_mov_b32_e32 v10, v2
	v_add_co_u32_e32 v5, vcc, s12, v5
	v_addc_co_u32_e32 v6, vcc, v69, v6, vcc
	v_add_co_u32_e32 v5, vcc, s0, v5
	v_addc_co_u32_e32 v6, vcc, 0, v6, vcc
	global_load_dwordx2 v[65:66], v[5:6], off offset:880
	v_lshlrev_b64 v[5:6], 3, v[9:10]
	ds_read_b32 v11, v50
	ds_read_b32 v50, v8
	v_mov_b32_e32 v8, v2
	v_add_co_u32_e32 v2, vcc, s12, v5
	v_addc_co_u32_e32 v6, vcc, v69, v6, vcc
	v_add_co_u32_e32 v5, vcc, s0, v2
	v_lshlrev_b64 v[7:8], 3, v[7:8]
	v_addc_co_u32_e32 v6, vcc, 0, v6, vcc
	global_load_dwordx2 v[67:68], v[5:6], off offset:880
	v_add_co_u32_e32 v2, vcc, s12, v7
	v_addc_co_u32_e32 v6, vcc, v69, v8, vcc
	v_add_co_u32_e32 v5, vcc, s0, v2
	v_add_u32_e32 v72, 0x1000, v0
	v_addc_co_u32_e32 v6, vcc, 0, v6, vcc
	global_load_dwordx2 v[69:70], v[5:6], off offset:880
	ds_read2_b32 v[9:10], v72 offset0:120 offset1:172
	v_add_co_u32_e32 v5, vcc, s0, v33
	v_addc_co_u32_e32 v6, vcc, 0, v34, vcc
	global_load_dwordx2 v[33:34], v[5:6], off offset:880
	ds_read_b32 v49, v49
	v_add3_u32 v64, v64, v12, v71
	s_movk_i32 s1, 0x4e0
	ds_read_b32 v43, v43
	s_waitcnt vmcnt(6)
	v_mul_f32_e32 v2, v42, v24
	s_waitcnt lgkmcnt(2)
	v_fma_f32 v2, v23, v10, -v2
	v_mul_f32_e32 v5, v10, v24
	v_sub_f32_e32 v6, v11, v2
	v_add_co_u32_e32 v10, vcc, s0, v31
	v_fma_f32 v8, v11, 2.0, -v6
	v_addc_co_u32_e32 v11, vcc, 0, v32, vcc
	v_fmac_f32_e32 v5, v42, v23
	global_load_dwordx2 v[23:24], v[10:11], off offset:880
	v_add_co_u32_e32 v29, vcc, s0, v29
	v_addc_co_u32_e32 v30, vcc, 0, v30, vcc
	v_add_co_u32_e32 v13, vcc, s0, v13
	global_load_dwordx2 v[29:30], v[29:30], off offset:880
	v_addc_co_u32_e32 v14, vcc, 0, v14, vcc
	s_waitcnt vmcnt(7)
	v_mul_f32_e32 v2, v41, v17
	v_add_co_u32_e32 v25, vcc, s0, v25
	v_fma_f32 v2, v16, v9, -v2
	v_addc_co_u32_e32 v26, vcc, 0, v26, vcc
	global_load_dwordx2 v[25:26], v[25:26], off offset:880
	v_sub_f32_e32 v10, v50, v2
	v_mul_f32_e32 v2, v9, v17
	v_fmac_f32_e32 v2, v41, v16
	global_load_dwordx2 v[41:42], v[13:14], off offset:880
	v_add_co_u32_e32 v27, vcc, s0, v27
	v_addc_co_u32_e32 v28, vcc, 0, v28, vcc
	global_load_dwordx2 v[27:28], v[27:28], off offset:880
	ds_read2_b32 v[31:32], v72 offset0:16 offset1:68
	v_sub_f32_e32 v9, v59, v2
	s_waitcnt vmcnt(9)
	v_mul_f32_e32 v2, v40, v62
	ds_read_b32 v17, v48
	v_fma_f32 v12, v50, 2.0, -v10
	s_waitcnt lgkmcnt(1)
	v_fma_f32 v2, v61, v32, -v2
	v_sub_f32_e32 v14, v49, v2
	v_mul_f32_e32 v2, v32, v62
	v_fmac_f32_e32 v2, v40, v61
	v_sub_f32_e32 v13, v15, v2
	s_waitcnt vmcnt(8)
	v_mul_f32_e32 v2, v39, v66
	v_fma_f32 v2, v65, v31, -v2
	s_waitcnt lgkmcnt(0)
	v_sub_f32_e32 v32, v17, v2
	v_fma_f32 v40, v17, 2.0, -v32
	v_mul_f32_e32 v2, v31, v66
	v_add_u32_e32 v17, 0xc00, v0
	v_fma_f32 v16, v49, 2.0, -v14
	v_fmac_f32_e32 v2, v39, v65
	ds_read2_b32 v[48:49], v17 offset0:168 offset1:220
	v_sub_f32_e32 v31, v52, v2
	ds_read_b32 v2, v47
	v_fma_f32 v39, v52, 2.0, -v31
	ds_read_b32 v52, v46
	ds_read_b32 v61, v45
	s_waitcnt vmcnt(7)
	v_mul_f32_e32 v47, v38, v68
	s_waitcnt lgkmcnt(3)
	v_fma_f32 v47, v67, v49, -v47
	s_waitcnt lgkmcnt(2)
	v_sub_f32_e32 v47, v2, v47
	v_fma_f32 v50, v2, 2.0, -v47
	v_mul_f32_e32 v2, v49, v68
	v_sub_f32_e32 v5, v60, v5
	v_fmac_f32_e32 v2, v38, v67
	v_fma_f32 v7, v60, 2.0, -v5
	v_fma_f32 v11, v59, 2.0, -v9
	v_sub_f32_e32 v46, v58, v2
	s_waitcnt vmcnt(6)
	v_mul_f32_e32 v2, v37, v70
	ds_read2_b32 v[59:60], v17 offset0:64 offset1:116
	ds_read_b32 v17, v44
	v_fma_f32 v2, v69, v48, -v2
	s_waitcnt lgkmcnt(3)
	v_sub_f32_e32 v38, v52, v2
	v_mul_f32_e32 v2, v48, v70
	v_fmac_f32_e32 v2, v37, v69
	v_sub_f32_e32 v37, v57, v2
	s_waitcnt vmcnt(5)
	v_mul_f32_e32 v2, v36, v34
	s_waitcnt lgkmcnt(1)
	v_fma_f32 v2, v33, v60, -v2
	v_sub_f32_e32 v45, v61, v2
	v_mul_f32_e32 v2, v60, v34
	v_fmac_f32_e32 v2, v36, v33
	v_sub_f32_e32 v44, v56, v2
	ds_read_b32 v48, v79
	v_fma_f32 v49, v58, 2.0, -v46
	v_fma_f32 v58, v52, 2.0, -v38
	s_mov_b32 s0, 0x1a41a41b
	v_fma_f32 v61, v61, 2.0, -v45
	v_fma_f32 v60, v56, 2.0, -v44
	s_waitcnt vmcnt(4)
	v_mul_f32_e32 v2, v35, v24
	v_fma_f32 v2, v23, v59, -v2
	s_waitcnt lgkmcnt(1)
	v_sub_f32_e32 v34, v17, v2
	v_fma_f32 v36, v17, 2.0, -v34
	v_add_u32_e32 v17, 0xa00, v0
	ds_read2_b32 v[65:66], v17 offset0:88 offset1:140
	v_mul_f32_e32 v2, v59, v24
	v_fmac_f32_e32 v2, v35, v23
	v_sub_f32_e32 v33, v55, v2
	s_waitcnt vmcnt(3)
	v_mul_f32_e32 v2, v21, v30
	s_waitcnt lgkmcnt(0)
	v_fma_f32 v2, v29, v66, -v2
	ds_read_b32 v17, v80
	v_sub_f32_e32 v24, v43, v2
	v_mul_f32_e32 v2, v66, v30
	v_fmac_f32_e32 v2, v21, v29
	v_sub_f32_e32 v23, v54, v2
	v_fma_f32 v35, v55, 2.0, -v33
	v_fma_f32 v55, v43, 2.0, -v24
	;; [unrolled: 1-line block ×4, first 2 shown]
	s_waitcnt vmcnt(1)
	v_mul_f32_e32 v2, v20, v42
	v_fma_f32 v2, v41, v65, -v2
	s_waitcnt lgkmcnt(0)
	v_sub_f32_e32 v21, v17, v2
	v_fma_f32 v30, v17, 2.0, -v21
	v_add_u32_e32 v17, 0x800, v0
	v_mul_f32_e32 v2, v65, v42
	ds_read2_b32 v[42:43], v17 offset0:112 offset1:164
	v_fmac_f32_e32 v2, v20, v41
	v_sub_f32_e32 v20, v53, v2
	v_mul_f32_e32 v2, v19, v26
	v_fma_f32 v29, v53, 2.0, -v20
	s_waitcnt lgkmcnt(0)
	v_fma_f32 v2, v25, v43, -v2
	ds_read_b32 v0, v0
	v_sub_f32_e32 v53, v48, v2
	v_mul_f32_e32 v2, v43, v26
	v_fmac_f32_e32 v2, v19, v25
	v_sub_f32_e32 v52, v51, v2
	v_lshrrev_b32_e32 v2, 4, v1
	v_mul_hi_u32 v2, v2, s0
	v_fma_f32 v66, v48, 2.0, -v53
	s_waitcnt vmcnt(0)
	v_mul_f32_e32 v17, v18, v28
	v_fma_f32 v17, v27, v42, -v17
	v_lshrrev_b32_e32 v2, 2, v2
	v_mul_u32_u24_e32 v2, 0x270, v2
	v_sub_u32_e32 v48, v1, v2
	v_mad_u64_u32 v[25:26], s[4:5], s2, v48, 0
	s_waitcnt lgkmcnt(0)
	v_sub_f32_e32 v19, v0, v17
	v_fma_f32 v43, v0, 2.0, -v19
	v_mul_f32_e32 v2, v42, v28
	v_mov_b32_e32 v0, v26
	v_mad_u64_u32 v[41:42], s[4:5], s3, v48, v[0:1]
	v_fmac_f32_e32 v2, v18, v27
	v_lshlrev_b64 v[27:28], 3, v[63:64]
	v_sub_f32_e32 v18, v22, v2
	v_mov_b32_e32 v0, s11
	v_add_co_u32_e32 v17, vcc, s10, v27
	v_lshlrev_b64 v[2:3], 3, v[3:4]
	v_addc_co_u32_e32 v0, vcc, v0, v28, vcc
	v_fma_f32 v42, v22, 2.0, -v18
	v_mov_b32_e32 v26, v41
	v_add_co_u32_e32 v22, vcc, v17, v2
	v_add_u32_e32 v4, 0x270, v48
	v_add_u32_e32 v17, 52, v1
	v_addc_co_u32_e32 v41, vcc, v0, v3, vcc
	v_lshlrev_b64 v[2:3], 3, v[25:26]
	v_mad_u64_u32 v[25:26], s[4:5], s2, v4, 0
	v_lshrrev_b32_e32 v0, 4, v17
	v_mul_hi_u32 v28, v0, s0
	v_mov_b32_e32 v0, v26
	v_mad_u64_u32 v[26:27], s[4:5], s3, v4, v[0:1]
	v_lshrrev_b32_e32 v0, 2, v28
	v_mul_u32_u24_e32 v4, 0x270, v0
	v_sub_u32_e32 v4, v17, v4
	v_mad_u32_u24 v4, v0, s1, v4
	v_mad_u64_u32 v[27:28], s[4:5], s2, v4, 0
	v_add_co_u32_e32 v2, vcc, v22, v2
	v_addc_co_u32_e32 v3, vcc, v41, v3, vcc
	v_mov_b32_e32 v0, v28
	global_store_dwordx2 v[2:3], v[42:43], off
	v_lshlrev_b64 v[2:3], 3, v[25:26]
	v_mad_u64_u32 v[25:26], s[4:5], s3, v4, v[0:1]
	v_add_co_u32_e32 v2, vcc, v22, v2
	v_addc_co_u32_e32 v3, vcc, v41, v3, vcc
	v_mov_b32_e32 v28, v25
	v_add_u32_e32 v4, 0x270, v4
	v_add_u32_e32 v25, 0x68, v1
	global_store_dwordx2 v[2:3], v[18:19], off
	v_mad_u64_u32 v[17:18], s[4:5], s2, v4, 0
	v_lshrrev_b32_e32 v0, 4, v25
	v_mul_hi_u32 v26, v0, s0
	v_mov_b32_e32 v0, v18
	v_mad_u64_u32 v[18:19], s[4:5], s3, v4, v[0:1]
	v_lshrrev_b32_e32 v0, 2, v26
	v_mul_u32_u24_e32 v4, 0x270, v0
	v_sub_u32_e32 v4, v25, v4
	v_mad_u32_u24 v4, v0, s1, v4
	v_mad_u64_u32 v[25:26], s[4:5], s2, v4, 0
	v_lshlrev_b64 v[2:3], 3, v[27:28]
	v_fma_f32 v65, v51, 2.0, -v52
	v_add_co_u32_e32 v2, vcc, v22, v2
	v_addc_co_u32_e32 v3, vcc, v41, v3, vcc
	v_mov_b32_e32 v0, v26
	global_store_dwordx2 v[2:3], v[65:66], off
	v_lshlrev_b64 v[2:3], 3, v[17:18]
	v_mad_u64_u32 v[17:18], s[4:5], s3, v4, v[0:1]
	v_add_co_u32_e32 v2, vcc, v22, v2
	v_addc_co_u32_e32 v3, vcc, v41, v3, vcc
	v_mov_b32_e32 v26, v17
	global_store_dwordx2 v[2:3], v[52:53], off
	v_lshlrev_b64 v[2:3], 3, v[25:26]
	v_add_u32_e32 v4, 0x270, v4
	v_add_u32_e32 v25, 0x9c, v1
	v_mad_u64_u32 v[17:18], s[4:5], s2, v4, 0
	v_lshrrev_b32_e32 v0, 4, v25
	v_mul_hi_u32 v26, v0, s0
	v_mov_b32_e32 v0, v18
	v_mad_u64_u32 v[18:19], s[4:5], s3, v4, v[0:1]
	v_lshrrev_b32_e32 v0, 2, v26
	v_mul_u32_u24_e32 v4, 0x270, v0
	v_sub_u32_e32 v4, v25, v4
	v_mad_u32_u24 v4, v0, s1, v4
	v_mad_u64_u32 v[25:26], s[4:5], s2, v4, 0
	v_add_co_u32_e32 v2, vcc, v22, v2
	v_addc_co_u32_e32 v3, vcc, v41, v3, vcc
	global_store_dwordx2 v[2:3], v[29:30], off
	v_lshlrev_b64 v[2:3], 3, v[17:18]
	v_mov_b32_e32 v0, v26
	v_mad_u64_u32 v[17:18], s[4:5], s3, v4, v[0:1]
	v_add_co_u32_e32 v2, vcc, v22, v2
	v_addc_co_u32_e32 v3, vcc, v41, v3, vcc
	global_store_dwordx2 v[2:3], v[20:21], off
	v_add_u32_e32 v4, 0x270, v4
	v_add_u32_e32 v20, 0xd0, v1
	v_mov_b32_e32 v26, v17
	v_mad_u64_u32 v[17:18], s[4:5], s2, v4, 0
	v_lshrrev_b32_e32 v0, 4, v20
	v_mul_hi_u32 v21, v0, s0
	v_mov_b32_e32 v0, v18
	v_mad_u64_u32 v[18:19], s[4:5], s3, v4, v[0:1]
	v_lshrrev_b32_e32 v0, 2, v21
	v_mul_u32_u24_e32 v4, 0x270, v0
	v_sub_u32_e32 v4, v20, v4
	v_mad_u32_u24 v4, v0, s1, v4
	v_mad_u64_u32 v[19:20], s[4:5], s2, v4, 0
	v_lshlrev_b64 v[2:3], 3, v[25:26]
	v_fma_f32 v15, v15, 2.0, -v13
	v_add_co_u32_e32 v2, vcc, v22, v2
	v_addc_co_u32_e32 v3, vcc, v41, v3, vcc
	v_mov_b32_e32 v0, v20
	global_store_dwordx2 v[2:3], v[54:55], off
	v_lshlrev_b64 v[2:3], 3, v[17:18]
	v_mad_u64_u32 v[17:18], s[4:5], s3, v4, v[0:1]
	v_add_co_u32_e32 v2, vcc, v22, v2
	v_addc_co_u32_e32 v3, vcc, v41, v3, vcc
	v_mov_b32_e32 v20, v17
	global_store_dwordx2 v[2:3], v[23:24], off
	v_lshlrev_b64 v[2:3], 3, v[19:20]
	v_add_u32_e32 v4, 0x270, v4
	v_add_u32_e32 v20, 0x104, v1
	v_mad_u64_u32 v[17:18], s[4:5], s2, v4, 0
	v_lshrrev_b32_e32 v0, 4, v20
	v_mul_hi_u32 v21, v0, s0
	v_mov_b32_e32 v0, v18
	v_mad_u64_u32 v[18:19], s[4:5], s3, v4, v[0:1]
	v_lshrrev_b32_e32 v0, 2, v21
	v_mul_u32_u24_e32 v4, 0x270, v0
	v_sub_u32_e32 v4, v20, v4
	v_mad_u32_u24 v4, v0, s1, v4
	v_mad_u64_u32 v[19:20], s[4:5], s2, v4, 0
	v_add_co_u32_e32 v2, vcc, v22, v2
	v_addc_co_u32_e32 v3, vcc, v41, v3, vcc
	v_mov_b32_e32 v0, v20
	global_store_dwordx2 v[2:3], v[35:36], off
	v_lshlrev_b64 v[2:3], 3, v[17:18]
	v_mad_u64_u32 v[17:18], s[4:5], s3, v4, v[0:1]
	v_add_co_u32_e32 v2, vcc, v22, v2
	v_addc_co_u32_e32 v3, vcc, v41, v3, vcc
	v_mov_b32_e32 v20, v17
	global_store_dwordx2 v[2:3], v[33:34], off
	v_lshlrev_b64 v[2:3], 3, v[19:20]
	v_add_u32_e32 v4, 0x270, v4
	v_add_u32_e32 v20, 0x138, v1
	v_mad_u64_u32 v[17:18], s[4:5], s2, v4, 0
	v_lshrrev_b32_e32 v0, 4, v20
	v_mul_hi_u32 v21, v0, s0
	v_mov_b32_e32 v0, v18
	v_mad_u64_u32 v[18:19], s[4:5], s3, v4, v[0:1]
	v_lshrrev_b32_e32 v0, 2, v21
	v_mul_u32_u24_e32 v4, 0x270, v0
	v_sub_u32_e32 v4, v20, v4
	v_mad_u32_u24 v4, v0, s1, v4
	v_mad_u64_u32 v[19:20], s[4:5], s2, v4, 0
	;; [unrolled: 23-line block ×5, first 2 shown]
	v_add_co_u32_e32 v2, vcc, v22, v2
	v_addc_co_u32_e32 v3, vcc, v41, v3, vcc
	v_mov_b32_e32 v0, v20
	global_store_dwordx2 v[2:3], v[39:40], off
	v_lshlrev_b64 v[2:3], 3, v[17:18]
	v_mad_u64_u32 v[17:18], s[4:5], s3, v4, v[0:1]
	v_add_co_u32_e32 v2, vcc, v22, v2
	v_addc_co_u32_e32 v3, vcc, v41, v3, vcc
	v_mov_b32_e32 v20, v17
	global_store_dwordx2 v[2:3], v[31:32], off
	v_lshlrev_b64 v[2:3], 3, v[19:20]
	v_add_u32_e32 v4, 0x270, v4
	v_add_u32_e32 v20, 0x208, v1
	v_mad_u64_u32 v[17:18], s[4:5], s2, v4, 0
	v_lshrrev_b32_e32 v0, 4, v20
	v_mul_hi_u32 v21, v0, s0
	v_mov_b32_e32 v0, v18
	v_mad_u64_u32 v[18:19], s[4:5], s3, v4, v[0:1]
	v_lshrrev_b32_e32 v0, 2, v21
	v_mul_u32_u24_e32 v4, 0x270, v0
	v_sub_u32_e32 v4, v20, v4
	v_mad_u32_u24 v4, v0, s1, v4
	v_add_co_u32_e32 v2, vcc, v22, v2
	v_mad_u64_u32 v[19:20], s[4:5], s2, v4, 0
	v_addc_co_u32_e32 v3, vcc, v41, v3, vcc
	global_store_dwordx2 v[2:3], v[15:16], off
	v_lshlrev_b64 v[2:3], 3, v[17:18]
	v_mov_b32_e32 v0, v20
	v_add_co_u32_e32 v2, vcc, v22, v2
	v_mad_u64_u32 v[15:16], s[4:5], s3, v4, v[0:1]
	v_addc_co_u32_e32 v3, vcc, v41, v3, vcc
	v_add_u32_e32 v4, 0x270, v4
	global_store_dwordx2 v[2:3], v[13:14], off
	v_mad_u64_u32 v[13:14], s[4:5], s2, v4, 0
	v_mov_b32_e32 v20, v15
	v_lshlrev_b64 v[2:3], 3, v[19:20]
	v_mov_b32_e32 v0, v14
	v_mad_u64_u32 v[14:15], s[4:5], s3, v4, v[0:1]
	v_add_u32_e32 v4, 0x23c, v1
	v_lshrrev_b32_e32 v0, 4, v4
	v_mul_hi_u32 v15, v0, s0
	v_add_co_u32_e32 v2, vcc, v22, v2
	v_addc_co_u32_e32 v3, vcc, v41, v3, vcc
	global_store_dwordx2 v[2:3], v[11:12], off
	v_lshrrev_b32_e32 v2, 2, v15
	v_mul_u32_u24_e32 v3, 0x270, v2
	v_sub_u32_e32 v3, v4, v3
	v_mad_u32_u24 v11, v2, s1, v3
	v_mad_u64_u32 v[2:3], s[0:1], s2, v11, 0
	v_lshlrev_b64 v[0:1], 3, v[13:14]
	v_mad_u64_u32 v[3:4], s[0:1], s3, v11, v[3:4]
	v_add_u32_e32 v4, 0x270, v11
	v_mad_u64_u32 v[11:12], s[0:1], s2, v4, 0
	v_add_co_u32_e32 v0, vcc, v22, v0
	v_addc_co_u32_e32 v1, vcc, v41, v1, vcc
	global_store_dwordx2 v[0:1], v[9:10], off
	v_lshlrev_b64 v[0:1], 3, v[2:3]
	v_mov_b32_e32 v2, v12
	v_mad_u64_u32 v[2:3], s[0:1], s3, v4, v[2:3]
	v_add_co_u32_e32 v0, vcc, v22, v0
	v_addc_co_u32_e32 v1, vcc, v41, v1, vcc
	v_mov_b32_e32 v12, v2
	global_store_dwordx2 v[0:1], v[7:8], off
	v_lshlrev_b64 v[0:1], 3, v[11:12]
	v_add_co_u32_e32 v0, vcc, v22, v0
	v_addc_co_u32_e32 v1, vcc, v41, v1, vcc
	global_store_dwordx2 v[0:1], v[5:6], off
.LBB0_23:
	s_endpgm
	.section	.rodata,"a",@progbits
	.p2align	6, 0x0
	.amdhsa_kernel fft_rtc_back_len1248_factors_2_2_13_2_3_2_2_wgs_52_tpt_52_halfLds_sp_op_CI_CI_sbrr_dirReg
		.amdhsa_group_segment_fixed_size 0
		.amdhsa_private_segment_fixed_size 0
		.amdhsa_kernarg_size 104
		.amdhsa_user_sgpr_count 6
		.amdhsa_user_sgpr_private_segment_buffer 1
		.amdhsa_user_sgpr_dispatch_ptr 0
		.amdhsa_user_sgpr_queue_ptr 0
		.amdhsa_user_sgpr_kernarg_segment_ptr 1
		.amdhsa_user_sgpr_dispatch_id 0
		.amdhsa_user_sgpr_flat_scratch_init 0
		.amdhsa_user_sgpr_private_segment_size 0
		.amdhsa_uses_dynamic_stack 0
		.amdhsa_system_sgpr_private_segment_wavefront_offset 0
		.amdhsa_system_sgpr_workgroup_id_x 1
		.amdhsa_system_sgpr_workgroup_id_y 0
		.amdhsa_system_sgpr_workgroup_id_z 0
		.amdhsa_system_sgpr_workgroup_info 0
		.amdhsa_system_vgpr_workitem_id 0
		.amdhsa_next_free_vgpr 136
		.amdhsa_next_free_sgpr 32
		.amdhsa_reserve_vcc 1
		.amdhsa_reserve_flat_scratch 0
		.amdhsa_float_round_mode_32 0
		.amdhsa_float_round_mode_16_64 0
		.amdhsa_float_denorm_mode_32 3
		.amdhsa_float_denorm_mode_16_64 3
		.amdhsa_dx10_clamp 1
		.amdhsa_ieee_mode 1
		.amdhsa_fp16_overflow 0
		.amdhsa_exception_fp_ieee_invalid_op 0
		.amdhsa_exception_fp_denorm_src 0
		.amdhsa_exception_fp_ieee_div_zero 0
		.amdhsa_exception_fp_ieee_overflow 0
		.amdhsa_exception_fp_ieee_underflow 0
		.amdhsa_exception_fp_ieee_inexact 0
		.amdhsa_exception_int_div_zero 0
	.end_amdhsa_kernel
	.text
.Lfunc_end0:
	.size	fft_rtc_back_len1248_factors_2_2_13_2_3_2_2_wgs_52_tpt_52_halfLds_sp_op_CI_CI_sbrr_dirReg, .Lfunc_end0-fft_rtc_back_len1248_factors_2_2_13_2_3_2_2_wgs_52_tpt_52_halfLds_sp_op_CI_CI_sbrr_dirReg
                                        ; -- End function
	.section	.AMDGPU.csdata,"",@progbits
; Kernel info:
; codeLenInByte = 19868
; NumSgprs: 36
; NumVgprs: 136
; ScratchSize: 0
; MemoryBound: 0
; FloatMode: 240
; IeeeMode: 1
; LDSByteSize: 0 bytes/workgroup (compile time only)
; SGPRBlocks: 4
; VGPRBlocks: 33
; NumSGPRsForWavesPerEU: 36
; NumVGPRsForWavesPerEU: 136
; Occupancy: 1
; WaveLimiterHint : 1
; COMPUTE_PGM_RSRC2:SCRATCH_EN: 0
; COMPUTE_PGM_RSRC2:USER_SGPR: 6
; COMPUTE_PGM_RSRC2:TRAP_HANDLER: 0
; COMPUTE_PGM_RSRC2:TGID_X_EN: 1
; COMPUTE_PGM_RSRC2:TGID_Y_EN: 0
; COMPUTE_PGM_RSRC2:TGID_Z_EN: 0
; COMPUTE_PGM_RSRC2:TIDIG_COMP_CNT: 0
	.type	__hip_cuid_a7331c273da77dc2,@object ; @__hip_cuid_a7331c273da77dc2
	.section	.bss,"aw",@nobits
	.globl	__hip_cuid_a7331c273da77dc2
__hip_cuid_a7331c273da77dc2:
	.byte	0                               ; 0x0
	.size	__hip_cuid_a7331c273da77dc2, 1

	.ident	"AMD clang version 19.0.0git (https://github.com/RadeonOpenCompute/llvm-project roc-6.4.0 25133 c7fe45cf4b819c5991fe208aaa96edf142730f1d)"
	.section	".note.GNU-stack","",@progbits
	.addrsig
	.addrsig_sym __hip_cuid_a7331c273da77dc2
	.amdgpu_metadata
---
amdhsa.kernels:
  - .args:
      - .actual_access:  read_only
        .address_space:  global
        .offset:         0
        .size:           8
        .value_kind:     global_buffer
      - .offset:         8
        .size:           8
        .value_kind:     by_value
      - .actual_access:  read_only
        .address_space:  global
        .offset:         16
        .size:           8
        .value_kind:     global_buffer
      - .actual_access:  read_only
        .address_space:  global
        .offset:         24
        .size:           8
        .value_kind:     global_buffer
      - .actual_access:  read_only
        .address_space:  global
        .offset:         32
        .size:           8
        .value_kind:     global_buffer
      - .offset:         40
        .size:           8
        .value_kind:     by_value
      - .actual_access:  read_only
        .address_space:  global
        .offset:         48
        .size:           8
        .value_kind:     global_buffer
      - .actual_access:  read_only
        .address_space:  global
        .offset:         56
        .size:           8
        .value_kind:     global_buffer
      - .offset:         64
        .size:           4
        .value_kind:     by_value
      - .actual_access:  read_only
        .address_space:  global
        .offset:         72
        .size:           8
        .value_kind:     global_buffer
      - .actual_access:  read_only
        .address_space:  global
        .offset:         80
        .size:           8
        .value_kind:     global_buffer
      - .actual_access:  read_only
        .address_space:  global
        .offset:         88
        .size:           8
        .value_kind:     global_buffer
      - .actual_access:  write_only
        .address_space:  global
        .offset:         96
        .size:           8
        .value_kind:     global_buffer
    .group_segment_fixed_size: 0
    .kernarg_segment_align: 8
    .kernarg_segment_size: 104
    .language:       OpenCL C
    .language_version:
      - 2
      - 0
    .max_flat_workgroup_size: 52
    .name:           fft_rtc_back_len1248_factors_2_2_13_2_3_2_2_wgs_52_tpt_52_halfLds_sp_op_CI_CI_sbrr_dirReg
    .private_segment_fixed_size: 0
    .sgpr_count:     36
    .sgpr_spill_count: 0
    .symbol:         fft_rtc_back_len1248_factors_2_2_13_2_3_2_2_wgs_52_tpt_52_halfLds_sp_op_CI_CI_sbrr_dirReg.kd
    .uniform_work_group_size: 1
    .uses_dynamic_stack: false
    .vgpr_count:     136
    .vgpr_spill_count: 0
    .wavefront_size: 64
amdhsa.target:   amdgcn-amd-amdhsa--gfx906
amdhsa.version:
  - 1
  - 2
...

	.end_amdgpu_metadata
